;; amdgpu-corpus repo=ROCm/rocFFT kind=compiled arch=gfx906 opt=O3
	.text
	.amdgcn_target "amdgcn-amd-amdhsa--gfx906"
	.amdhsa_code_object_version 6
	.protected	fft_rtc_fwd_len714_factors_3_17_7_2_wgs_51_tpt_51_halfLds_dp_ip_CI_unitstride_sbrr_C2R_dirReg ; -- Begin function fft_rtc_fwd_len714_factors_3_17_7_2_wgs_51_tpt_51_halfLds_dp_ip_CI_unitstride_sbrr_C2R_dirReg
	.globl	fft_rtc_fwd_len714_factors_3_17_7_2_wgs_51_tpt_51_halfLds_dp_ip_CI_unitstride_sbrr_C2R_dirReg
	.p2align	8
	.type	fft_rtc_fwd_len714_factors_3_17_7_2_wgs_51_tpt_51_halfLds_dp_ip_CI_unitstride_sbrr_C2R_dirReg,@function
fft_rtc_fwd_len714_factors_3_17_7_2_wgs_51_tpt_51_halfLds_dp_ip_CI_unitstride_sbrr_C2R_dirReg: ; @fft_rtc_fwd_len714_factors_3_17_7_2_wgs_51_tpt_51_halfLds_dp_ip_CI_unitstride_sbrr_C2R_dirReg
; %bb.0:
	s_load_dwordx2 s[2:3], s[4:5], 0x50
	s_load_dwordx4 s[8:11], s[4:5], 0x0
	s_load_dwordx2 s[12:13], s[4:5], 0x18
	v_mul_u32_u24_e32 v1, 0x506, v0
	v_add_u32_sdwa v5, s6, v1 dst_sel:DWORD dst_unused:UNUSED_PAD src0_sel:DWORD src1_sel:WORD_1
	v_mov_b32_e32 v3, 0
	s_waitcnt lgkmcnt(0)
	v_cmp_lt_u64_e64 s[0:1], s[10:11], 2
	v_mov_b32_e32 v1, 0
	v_mov_b32_e32 v6, v3
	s_and_b64 vcc, exec, s[0:1]
	v_mov_b32_e32 v2, 0
	s_cbranch_vccnz .LBB0_8
; %bb.1:
	s_load_dwordx2 s[0:1], s[4:5], 0x10
	s_add_u32 s6, s12, 8
	s_addc_u32 s7, s13, 0
	v_mov_b32_e32 v1, 0
	v_mov_b32_e32 v2, 0
	s_waitcnt lgkmcnt(0)
	s_add_u32 s14, s0, 8
	s_addc_u32 s15, s1, 0
	s_mov_b64 s[16:17], 1
.LBB0_2:                                ; =>This Inner Loop Header: Depth=1
	s_load_dwordx2 s[18:19], s[14:15], 0x0
                                        ; implicit-def: $vgpr7_vgpr8
	s_waitcnt lgkmcnt(0)
	v_or_b32_e32 v4, s19, v6
	v_cmp_ne_u64_e32 vcc, 0, v[3:4]
	s_and_saveexec_b64 s[0:1], vcc
	s_xor_b64 s[20:21], exec, s[0:1]
	s_cbranch_execz .LBB0_4
; %bb.3:                                ;   in Loop: Header=BB0_2 Depth=1
	v_cvt_f32_u32_e32 v4, s18
	v_cvt_f32_u32_e32 v7, s19
	s_sub_u32 s0, 0, s18
	s_subb_u32 s1, 0, s19
	v_mac_f32_e32 v4, 0x4f800000, v7
	v_rcp_f32_e32 v4, v4
	v_mul_f32_e32 v4, 0x5f7ffffc, v4
	v_mul_f32_e32 v7, 0x2f800000, v4
	v_trunc_f32_e32 v7, v7
	v_mac_f32_e32 v4, 0xcf800000, v7
	v_cvt_u32_f32_e32 v7, v7
	v_cvt_u32_f32_e32 v4, v4
	v_mul_lo_u32 v8, s0, v7
	v_mul_hi_u32 v9, s0, v4
	v_mul_lo_u32 v11, s1, v4
	v_mul_lo_u32 v10, s0, v4
	v_add_u32_e32 v8, v9, v8
	v_add_u32_e32 v8, v8, v11
	v_mul_hi_u32 v9, v4, v10
	v_mul_lo_u32 v11, v4, v8
	v_mul_hi_u32 v13, v4, v8
	v_mul_hi_u32 v12, v7, v10
	v_mul_lo_u32 v10, v7, v10
	v_mul_hi_u32 v14, v7, v8
	v_add_co_u32_e32 v9, vcc, v9, v11
	v_addc_co_u32_e32 v11, vcc, 0, v13, vcc
	v_mul_lo_u32 v8, v7, v8
	v_add_co_u32_e32 v9, vcc, v9, v10
	v_addc_co_u32_e32 v9, vcc, v11, v12, vcc
	v_addc_co_u32_e32 v10, vcc, 0, v14, vcc
	v_add_co_u32_e32 v8, vcc, v9, v8
	v_addc_co_u32_e32 v9, vcc, 0, v10, vcc
	v_add_co_u32_e32 v4, vcc, v4, v8
	v_addc_co_u32_e32 v7, vcc, v7, v9, vcc
	v_mul_lo_u32 v8, s0, v7
	v_mul_hi_u32 v9, s0, v4
	v_mul_lo_u32 v10, s1, v4
	v_mul_lo_u32 v11, s0, v4
	v_add_u32_e32 v8, v9, v8
	v_add_u32_e32 v8, v8, v10
	v_mul_lo_u32 v12, v4, v8
	v_mul_hi_u32 v13, v4, v11
	v_mul_hi_u32 v14, v4, v8
	;; [unrolled: 1-line block ×3, first 2 shown]
	v_mul_lo_u32 v11, v7, v11
	v_mul_hi_u32 v9, v7, v8
	v_add_co_u32_e32 v12, vcc, v13, v12
	v_addc_co_u32_e32 v13, vcc, 0, v14, vcc
	v_mul_lo_u32 v8, v7, v8
	v_add_co_u32_e32 v11, vcc, v12, v11
	v_addc_co_u32_e32 v10, vcc, v13, v10, vcc
	v_addc_co_u32_e32 v9, vcc, 0, v9, vcc
	v_add_co_u32_e32 v8, vcc, v10, v8
	v_addc_co_u32_e32 v9, vcc, 0, v9, vcc
	v_add_co_u32_e32 v4, vcc, v4, v8
	v_addc_co_u32_e32 v9, vcc, v7, v9, vcc
	v_mad_u64_u32 v[7:8], s[0:1], v5, v9, 0
	v_mul_hi_u32 v10, v5, v4
	v_add_co_u32_e32 v11, vcc, v10, v7
	v_addc_co_u32_e32 v12, vcc, 0, v8, vcc
	v_mad_u64_u32 v[7:8], s[0:1], v6, v4, 0
	v_mad_u64_u32 v[9:10], s[0:1], v6, v9, 0
	v_add_co_u32_e32 v4, vcc, v11, v7
	v_addc_co_u32_e32 v4, vcc, v12, v8, vcc
	v_addc_co_u32_e32 v7, vcc, 0, v10, vcc
	v_add_co_u32_e32 v4, vcc, v4, v9
	v_addc_co_u32_e32 v9, vcc, 0, v7, vcc
	v_mul_lo_u32 v10, s19, v4
	v_mul_lo_u32 v11, s18, v9
	v_mad_u64_u32 v[7:8], s[0:1], s18, v4, 0
	v_add3_u32 v8, v8, v11, v10
	v_sub_u32_e32 v10, v6, v8
	v_mov_b32_e32 v11, s19
	v_sub_co_u32_e32 v7, vcc, v5, v7
	v_subb_co_u32_e64 v10, s[0:1], v10, v11, vcc
	v_subrev_co_u32_e64 v11, s[0:1], s18, v7
	v_subbrev_co_u32_e64 v10, s[0:1], 0, v10, s[0:1]
	v_cmp_le_u32_e64 s[0:1], s19, v10
	v_cndmask_b32_e64 v12, 0, -1, s[0:1]
	v_cmp_le_u32_e64 s[0:1], s18, v11
	v_cndmask_b32_e64 v11, 0, -1, s[0:1]
	v_cmp_eq_u32_e64 s[0:1], s19, v10
	v_cndmask_b32_e64 v10, v12, v11, s[0:1]
	v_add_co_u32_e64 v11, s[0:1], 2, v4
	v_addc_co_u32_e64 v12, s[0:1], 0, v9, s[0:1]
	v_add_co_u32_e64 v13, s[0:1], 1, v4
	v_addc_co_u32_e64 v14, s[0:1], 0, v9, s[0:1]
	v_subb_co_u32_e32 v8, vcc, v6, v8, vcc
	v_cmp_ne_u32_e64 s[0:1], 0, v10
	v_cmp_le_u32_e32 vcc, s19, v8
	v_cndmask_b32_e64 v10, v14, v12, s[0:1]
	v_cndmask_b32_e64 v12, 0, -1, vcc
	v_cmp_le_u32_e32 vcc, s18, v7
	v_cndmask_b32_e64 v7, 0, -1, vcc
	v_cmp_eq_u32_e32 vcc, s19, v8
	v_cndmask_b32_e32 v7, v12, v7, vcc
	v_cmp_ne_u32_e32 vcc, 0, v7
	v_cndmask_b32_e64 v7, v13, v11, s[0:1]
	v_cndmask_b32_e32 v8, v9, v10, vcc
	v_cndmask_b32_e32 v7, v4, v7, vcc
.LBB0_4:                                ;   in Loop: Header=BB0_2 Depth=1
	s_andn2_saveexec_b64 s[0:1], s[20:21]
	s_cbranch_execz .LBB0_6
; %bb.5:                                ;   in Loop: Header=BB0_2 Depth=1
	v_cvt_f32_u32_e32 v4, s18
	s_sub_i32 s20, 0, s18
	v_rcp_iflag_f32_e32 v4, v4
	v_mul_f32_e32 v4, 0x4f7ffffe, v4
	v_cvt_u32_f32_e32 v4, v4
	v_mul_lo_u32 v7, s20, v4
	v_mul_hi_u32 v7, v4, v7
	v_add_u32_e32 v4, v4, v7
	v_mul_hi_u32 v4, v5, v4
	v_mul_lo_u32 v7, v4, s18
	v_add_u32_e32 v8, 1, v4
	v_sub_u32_e32 v7, v5, v7
	v_subrev_u32_e32 v9, s18, v7
	v_cmp_le_u32_e32 vcc, s18, v7
	v_cndmask_b32_e32 v7, v7, v9, vcc
	v_cndmask_b32_e32 v4, v4, v8, vcc
	v_add_u32_e32 v8, 1, v4
	v_cmp_le_u32_e32 vcc, s18, v7
	v_cndmask_b32_e32 v7, v4, v8, vcc
	v_mov_b32_e32 v8, v3
.LBB0_6:                                ;   in Loop: Header=BB0_2 Depth=1
	s_or_b64 exec, exec, s[0:1]
	v_mul_lo_u32 v4, v8, s18
	v_mul_lo_u32 v11, v7, s19
	v_mad_u64_u32 v[9:10], s[0:1], v7, s18, 0
	s_load_dwordx2 s[0:1], s[6:7], 0x0
	s_add_u32 s16, s16, 1
	v_add3_u32 v4, v10, v11, v4
	v_sub_co_u32_e32 v5, vcc, v5, v9
	v_subb_co_u32_e32 v4, vcc, v6, v4, vcc
	s_waitcnt lgkmcnt(0)
	v_mul_lo_u32 v4, s0, v4
	v_mul_lo_u32 v6, s1, v5
	v_mad_u64_u32 v[1:2], s[0:1], s0, v5, v[1:2]
	s_addc_u32 s17, s17, 0
	s_add_u32 s6, s6, 8
	v_add3_u32 v2, v6, v2, v4
	v_mov_b32_e32 v4, s10
	v_mov_b32_e32 v5, s11
	s_addc_u32 s7, s7, 0
	v_cmp_ge_u64_e32 vcc, s[16:17], v[4:5]
	s_add_u32 s14, s14, 8
	s_addc_u32 s15, s15, 0
	s_cbranch_vccnz .LBB0_9
; %bb.7:                                ;   in Loop: Header=BB0_2 Depth=1
	v_mov_b32_e32 v5, v7
	v_mov_b32_e32 v6, v8
	s_branch .LBB0_2
.LBB0_8:
	v_mov_b32_e32 v8, v6
	v_mov_b32_e32 v7, v5
.LBB0_9:
	s_lshl_b64 s[0:1], s[10:11], 3
	s_add_u32 s0, s12, s0
	s_addc_u32 s1, s13, s1
	s_load_dwordx2 s[6:7], s[0:1], 0x0
	s_load_dwordx2 s[10:11], s[4:5], 0x20
	s_waitcnt lgkmcnt(0)
	v_mad_u64_u32 v[1:2], s[0:1], s6, v7, v[1:2]
	s_mov_b32 s0, 0x5050506
	v_mul_lo_u32 v3, s6, v8
	v_mul_lo_u32 v4, s7, v7
	v_mul_hi_u32 v5, v0, s0
	v_cmp_gt_u64_e64 s[0:1], s[10:11], v[7:8]
	v_add3_u32 v2, v4, v2, v3
	v_mul_u32_u24_e32 v3, 51, v5
	v_sub_u32_e32 v4, v0, v3
	v_lshlrev_b64 v[78:79], 4, v[1:2]
	v_mov_b32_e32 v5, 0
	v_mov_b32_e32 v76, v4
	s_and_saveexec_b64 s[4:5], s[0:1]
	s_cbranch_execz .LBB0_13
; %bb.10:
	v_mov_b32_e32 v0, s3
	v_add_co_u32_e32 v3, vcc, s2, v78
	v_addc_co_u32_e32 v2, vcc, v0, v79, vcc
	v_lshlrev_b64 v[0:1], 4, v[4:5]
	s_movk_i32 s6, 0x1000
	v_add_co_u32_e32 v0, vcc, v3, v0
	v_addc_co_u32_e32 v1, vcc, v2, v1, vcc
	v_add_co_u32_e32 v62, vcc, s6, v0
	v_addc_co_u32_e32 v63, vcc, 0, v1, vcc
	global_load_dwordx4 v[6:9], v[0:1], off
	global_load_dwordx4 v[10:13], v[0:1], off offset:816
	global_load_dwordx4 v[14:17], v[0:1], off offset:1632
	;; [unrolled: 1-line block ×5, first 2 shown]
	v_add_co_u32_e32 v0, vcc, 0x2000, v0
	global_load_dwordx4 v[30:33], v[62:63], off offset:800
	global_load_dwordx4 v[34:37], v[62:63], off offset:1616
	;; [unrolled: 1-line block ×4, first 2 shown]
	v_addc_co_u32_e32 v1, vcc, 0, v1, vcc
	global_load_dwordx4 v[46:49], v[62:63], off offset:4064
	global_load_dwordx4 v[50:53], v[0:1], off offset:784
	;; [unrolled: 1-line block ×4, first 2 shown]
	v_lshl_add_u32 v0, v4, 4, 0
	v_cmp_eq_u32_e32 vcc, 50, v4
	s_waitcnt vmcnt(13)
	ds_write_b128 v0, v[6:9]
	s_waitcnt vmcnt(12)
	ds_write_b128 v0, v[10:13] offset:816
	s_waitcnt vmcnt(11)
	ds_write_b128 v0, v[14:17] offset:1632
	;; [unrolled: 2-line block ×13, first 2 shown]
	v_mov_b32_e32 v0, v4
	v_mov_b32_e32 v1, v5
	s_and_saveexec_b64 s[6:7], vcc
	s_cbranch_execz .LBB0_12
; %bb.11:
	v_add_co_u32_e32 v0, vcc, 0x2000, v3
	v_addc_co_u32_e32 v1, vcc, 0, v2, vcc
	global_load_dwordx4 v[2:5], v[0:1], off offset:3232
	v_mov_b32_e32 v6, 0
	v_mov_b32_e32 v0, 50
	;; [unrolled: 1-line block ×3, first 2 shown]
	s_waitcnt vmcnt(0)
	ds_write_b128 v6, v[2:5] offset:11424
	v_mov_b32_e32 v4, 50
.LBB0_12:
	s_or_b64 exec, exec, s[6:7]
	v_mov_b32_e32 v76, v4
	v_mov_b32_e32 v5, v1
	;; [unrolled: 1-line block ×3, first 2 shown]
.LBB0_13:
	s_or_b64 exec, exec, s[4:5]
	v_lshlrev_b32_e32 v0, 4, v76
	v_add_u32_e32 v184, 0, v0
	s_waitcnt lgkmcnt(0)
	; wave barrier
	s_waitcnt lgkmcnt(0)
	v_sub_u32_e32 v10, 0, v0
	ds_read_b64 v[6:7], v184
	ds_read_b64 v[8:9], v10 offset:11424
	s_add_u32 s6, s8, 0x2c70
	v_lshlrev_b64 v[80:81], 4, v[4:5]
	s_addc_u32 s7, s9, 0
	v_cmp_ne_u32_e32 vcc, 0, v76
	s_waitcnt lgkmcnt(0)
	v_add_f64 v[0:1], v[6:7], v[8:9]
	v_add_f64 v[2:3], v[6:7], -v[8:9]
	s_and_saveexec_b64 s[4:5], vcc
	s_xor_b64 s[4:5], exec, s[4:5]
	s_cbranch_execz .LBB0_15
; %bb.14:
	v_mov_b32_e32 v1, s7
	v_add_co_u32_e32 v0, vcc, s6, v80
	v_addc_co_u32_e32 v1, vcc, v1, v81, vcc
	global_load_dwordx4 v[2:5], v[0:1], off
	ds_read_b64 v[0:1], v10 offset:11432
	ds_read_b64 v[11:12], v184 offset:8
	v_add_f64 v[13:14], v[6:7], v[8:9]
	v_add_f64 v[8:9], v[6:7], -v[8:9]
	s_waitcnt lgkmcnt(0)
	v_add_f64 v[15:16], v[0:1], v[11:12]
	v_add_f64 v[0:1], v[11:12], -v[0:1]
	s_waitcnt vmcnt(0)
	v_fma_f64 v[6:7], -v[8:9], v[4:5], v[13:14]
	v_fma_f64 v[11:12], v[15:16], v[4:5], -v[0:1]
	v_fma_f64 v[13:14], v[8:9], v[4:5], v[13:14]
	v_fma_f64 v[17:18], v[15:16], v[4:5], v[0:1]
	;; [unrolled: 1-line block ×4, first 2 shown]
	v_fma_f64 v[0:1], -v[15:16], v[2:3], v[13:14]
	v_fma_f64 v[2:3], v[8:9], v[2:3], v[17:18]
	ds_write_b128 v10, v[4:7] offset:11424
.LBB0_15:
	s_andn2_saveexec_b64 s[4:5], s[4:5]
	s_cbranch_execz .LBB0_17
; %bb.16:
	v_mov_b32_e32 v8, 0
	ds_read_b128 v[4:7], v8 offset:5712
	s_waitcnt lgkmcnt(0)
	v_add_f64 v[4:5], v[4:5], v[4:5]
	v_mul_f64 v[6:7], v[6:7], -2.0
	ds_write_b128 v8, v[4:7] offset:5712
.LBB0_17:
	s_or_b64 exec, exec, s[4:5]
	v_mov_b32_e32 v77, 0
	v_lshlrev_b64 v[82:83], 4, v[76:77]
	v_mov_b32_e32 v4, s7
	v_add_co_u32_e32 v23, vcc, s6, v82
	v_addc_co_u32_e32 v24, vcc, v4, v83, vcc
	global_load_dwordx4 v[4:7], v[23:24], off offset:816
	global_load_dwordx4 v[11:14], v[23:24], off offset:1632
	ds_write_b128 v184, v[0:3]
	ds_read_b128 v[0:3], v184 offset:816
	ds_read_b128 v[15:18], v10 offset:10608
	global_load_dwordx4 v[19:22], v[23:24], off offset:2448
	s_movk_i32 s4, 0x1000
	s_mov_b32 s7, 0xbfebb67a
	s_waitcnt lgkmcnt(0)
	v_add_f64 v[8:9], v[0:1], v[15:16]
	v_add_f64 v[25:26], v[17:18], v[2:3]
	v_add_f64 v[15:16], v[0:1], -v[15:16]
	v_add_f64 v[0:1], v[2:3], -v[17:18]
	s_waitcnt vmcnt(2)
	v_fma_f64 v[2:3], v[15:16], v[6:7], v[8:9]
	v_fma_f64 v[17:18], v[25:26], v[6:7], v[0:1]
	v_fma_f64 v[8:9], -v[15:16], v[6:7], v[8:9]
	v_fma_f64 v[27:28], v[25:26], v[6:7], -v[0:1]
	v_fma_f64 v[0:1], -v[25:26], v[4:5], v[2:3]
	v_fma_f64 v[2:3], v[15:16], v[4:5], v[17:18]
	v_fma_f64 v[6:7], v[25:26], v[4:5], v[8:9]
	;; [unrolled: 1-line block ×3, first 2 shown]
	ds_write_b128 v184, v[0:3] offset:816
	ds_write_b128 v10, v[6:9] offset:10608
	ds_read_b128 v[0:3], v184 offset:1632
	ds_read_b128 v[4:7], v10 offset:9792
	global_load_dwordx4 v[15:18], v[23:24], off offset:3264
	s_waitcnt lgkmcnt(0)
	v_add_f64 v[8:9], v[0:1], v[4:5]
	v_add_f64 v[25:26], v[6:7], v[2:3]
	v_add_f64 v[27:28], v[0:1], -v[4:5]
	v_add_f64 v[0:1], v[2:3], -v[6:7]
	s_waitcnt vmcnt(2)
	v_fma_f64 v[2:3], v[27:28], v[13:14], v[8:9]
	v_fma_f64 v[4:5], v[25:26], v[13:14], v[0:1]
	v_fma_f64 v[6:7], -v[27:28], v[13:14], v[8:9]
	v_fma_f64 v[8:9], v[25:26], v[13:14], -v[0:1]
	v_fma_f64 v[0:1], -v[25:26], v[11:12], v[2:3]
	v_fma_f64 v[2:3], v[27:28], v[11:12], v[4:5]
	v_fma_f64 v[4:5], v[25:26], v[11:12], v[6:7]
	;; [unrolled: 1-line block ×3, first 2 shown]
	ds_write_b128 v184, v[0:3] offset:1632
	ds_write_b128 v10, v[4:7] offset:9792
	ds_read_b128 v[0:3], v184 offset:2448
	ds_read_b128 v[4:7], v10 offset:8976
	global_load_dwordx4 v[11:14], v[23:24], off offset:4080
	s_waitcnt lgkmcnt(0)
	v_add_f64 v[8:9], v[0:1], v[4:5]
	v_add_f64 v[25:26], v[6:7], v[2:3]
	v_add_f64 v[27:28], v[0:1], -v[4:5]
	v_add_f64 v[0:1], v[2:3], -v[6:7]
	s_waitcnt vmcnt(2)
	v_fma_f64 v[2:3], v[27:28], v[21:22], v[8:9]
	v_fma_f64 v[4:5], v[25:26], v[21:22], v[0:1]
	v_fma_f64 v[6:7], -v[27:28], v[21:22], v[8:9]
	v_fma_f64 v[8:9], v[25:26], v[21:22], -v[0:1]
	v_fma_f64 v[0:1], -v[25:26], v[19:20], v[2:3]
	v_fma_f64 v[2:3], v[27:28], v[19:20], v[4:5]
	v_fma_f64 v[4:5], v[25:26], v[19:20], v[6:7]
	;; [unrolled: 1-line block ×3, first 2 shown]
	v_add_co_u32_e32 v8, vcc, s4, v23
	ds_write_b128 v184, v[0:3] offset:2448
	ds_write_b128 v10, v[4:7] offset:8976
	v_addc_co_u32_e32 v9, vcc, 0, v24, vcc
	ds_read_b128 v[0:3], v184 offset:3264
	ds_read_b128 v[4:7], v10 offset:8160
	global_load_dwordx4 v[19:22], v[8:9], off offset:800
	s_mov_b32 s4, 0xe8584caa
	s_mov_b32 s5, 0x3febb67a
	;; [unrolled: 1-line block ×3, first 2 shown]
	s_waitcnt lgkmcnt(0)
	v_add_f64 v[8:9], v[0:1], v[4:5]
	v_add_f64 v[23:24], v[6:7], v[2:3]
	v_add_f64 v[25:26], v[0:1], -v[4:5]
	v_add_f64 v[0:1], v[2:3], -v[6:7]
	v_cmp_gt_u32_e32 vcc, 34, v76
	s_waitcnt vmcnt(2)
	v_fma_f64 v[2:3], v[25:26], v[17:18], v[8:9]
	v_fma_f64 v[4:5], v[23:24], v[17:18], v[0:1]
	v_fma_f64 v[6:7], -v[25:26], v[17:18], v[8:9]
	v_fma_f64 v[8:9], v[23:24], v[17:18], -v[0:1]
	v_fma_f64 v[0:1], -v[23:24], v[15:16], v[2:3]
	v_fma_f64 v[2:3], v[25:26], v[15:16], v[4:5]
	v_fma_f64 v[4:5], v[23:24], v[15:16], v[6:7]
	;; [unrolled: 1-line block ×3, first 2 shown]
	ds_write_b128 v184, v[0:3] offset:3264
	ds_write_b128 v10, v[4:7] offset:8160
	ds_read_b128 v[0:3], v184 offset:4080
	ds_read_b128 v[4:7], v10 offset:7344
	s_waitcnt lgkmcnt(0)
	v_add_f64 v[8:9], v[0:1], v[4:5]
	v_add_f64 v[15:16], v[6:7], v[2:3]
	v_add_f64 v[17:18], v[0:1], -v[4:5]
	v_add_f64 v[0:1], v[2:3], -v[6:7]
	s_waitcnt vmcnt(1)
	v_fma_f64 v[2:3], v[17:18], v[13:14], v[8:9]
	v_fma_f64 v[4:5], v[15:16], v[13:14], v[0:1]
	v_fma_f64 v[6:7], -v[17:18], v[13:14], v[8:9]
	v_fma_f64 v[8:9], v[15:16], v[13:14], -v[0:1]
	v_fma_f64 v[0:1], -v[15:16], v[11:12], v[2:3]
	v_fma_f64 v[2:3], v[17:18], v[11:12], v[4:5]
	v_fma_f64 v[4:5], v[15:16], v[11:12], v[6:7]
	;; [unrolled: 1-line block ×3, first 2 shown]
	ds_write_b128 v184, v[0:3] offset:4080
	ds_write_b128 v10, v[4:7] offset:7344
	ds_read_b128 v[0:3], v184 offset:4896
	ds_read_b128 v[4:7], v10 offset:6528
	s_waitcnt lgkmcnt(0)
	v_add_f64 v[8:9], v[0:1], v[4:5]
	v_add_f64 v[11:12], v[6:7], v[2:3]
	v_add_f64 v[13:14], v[0:1], -v[4:5]
	v_add_f64 v[0:1], v[2:3], -v[6:7]
	s_waitcnt vmcnt(0)
	v_fma_f64 v[2:3], v[13:14], v[21:22], v[8:9]
	v_fma_f64 v[4:5], v[11:12], v[21:22], v[0:1]
	v_fma_f64 v[6:7], -v[13:14], v[21:22], v[8:9]
	v_fma_f64 v[8:9], v[11:12], v[21:22], -v[0:1]
	v_fma_f64 v[0:1], -v[11:12], v[19:20], v[2:3]
	v_fma_f64 v[2:3], v[13:14], v[19:20], v[4:5]
	v_fma_f64 v[4:5], v[11:12], v[19:20], v[6:7]
	;; [unrolled: 1-line block ×3, first 2 shown]
	v_lshlrev_b32_e32 v8, 5, v76
	v_add_u32_e32 v60, v184, v8
	ds_write_b128 v184, v[0:3] offset:4896
	ds_write_b128 v10, v[4:7] offset:6528
	s_waitcnt lgkmcnt(0)
	; wave barrier
	s_waitcnt lgkmcnt(0)
	s_waitcnt lgkmcnt(0)
	; wave barrier
	s_waitcnt lgkmcnt(0)
	ds_read_b128 v[2:5], v184
	ds_read_b128 v[6:9], v184 offset:816
	ds_read_b128 v[10:13], v184 offset:7616
	;; [unrolled: 1-line block ×14, first 2 shown]
	s_waitcnt lgkmcnt(4)
	v_add_f64 v[0:1], v[2:3], v[42:43]
	v_add_f64 v[58:59], v[42:43], v[10:11]
	v_add_f64 v[65:66], v[44:45], -v[12:13]
	v_add_f64 v[67:68], v[4:5], v[44:45]
	v_add_f64 v[44:45], v[44:45], v[12:13]
	;; [unrolled: 1-line block ×4, first 2 shown]
	v_add_f64 v[73:74], v[20:21], -v[16:17]
	v_add_f64 v[84:85], v[8:9], v[20:21]
	v_add_f64 v[20:21], v[20:21], v[16:17]
	v_add_f64 v[86:87], v[18:19], -v[14:15]
	v_add_f64 v[18:19], v[26:27], v[22:23]
	v_add_f64 v[88:89], v[22:23], v[34:35]
	v_add_f64 v[90:91], v[24:25], -v[36:37]
	v_add_f64 v[92:93], v[28:29], v[24:25]
	v_add_f64 v[24:25], v[24:25], v[36:37]
	v_add_f64 v[94:95], v[22:23], -v[34:35]
	s_waitcnt lgkmcnt(2)
	v_add_f64 v[22:23], v[30:31], v[46:47]
	v_add_f64 v[96:97], v[46:47], v[38:39]
	v_add_f64 v[98:99], v[48:49], -v[40:41]
	v_add_f64 v[100:101], v[32:33], v[48:49]
	v_add_f64 v[48:49], v[48:49], v[40:41]
	v_add_f64 v[102:103], v[46:47], -v[38:39]
	s_waitcnt lgkmcnt(1)
	v_add_f64 v[46:47], v[50:51], v[54:55]
	s_waitcnt lgkmcnt(0)
	v_add_f64 v[104:105], v[54:55], v[61:62]
	v_add_f64 v[106:107], v[56:57], -v[63:64]
	v_add_f64 v[108:109], v[52:53], v[56:57]
	v_add_f64 v[56:57], v[56:57], v[63:64]
	v_add_f64 v[42:43], v[42:43], -v[10:11]
	v_add_f64 v[110:111], v[54:55], -v[61:62]
	v_add_f64 v[0:1], v[0:1], v[10:11]
	v_fma_f64 v[10:11], v[58:59], -0.5, v[2:3]
	v_add_f64 v[2:3], v[67:68], v[12:13]
	v_fma_f64 v[44:45], v[44:45], -0.5, v[4:5]
	;; [unrolled: 2-line block ×7, first 2 shown]
	v_fma_f64 v[67:68], v[48:49], -0.5, v[32:33]
	v_add_f64 v[48:49], v[46:47], v[61:62]
	v_fma_f64 v[61:62], v[104:105], -0.5, v[50:51]
	v_add_f64 v[50:51], v[108:109], v[63:64]
	;; [unrolled: 2-line block ×3, first 2 shown]
	v_fma_f64 v[20:21], v[65:66], s[4:5], v[10:11]
	v_fma_f64 v[24:25], v[65:66], s[6:7], v[10:11]
	;; [unrolled: 1-line block ×20, first 2 shown]
	s_waitcnt lgkmcnt(0)
	; wave barrier
	ds_write_b128 v60, v[0:3]
	ds_write_b128 v60, v[12:15] offset:2448
	ds_write_b128 v60, v[16:19] offset:4896
	;; [unrolled: 1-line block ×11, first 2 shown]
	s_and_saveexec_b64 s[4:5], vcc
	s_cbranch_execz .LBB0_19
; %bb.18:
	ds_write_b128 v60, v[48:51] offset:9792
	ds_write_b128 v60, v[52:55] offset:9808
	;; [unrolled: 1-line block ×3, first 2 shown]
.LBB0_19:
	s_or_b64 exec, exec, s[4:5]
	v_cmp_gt_u32_e32 vcc, 42, v76
	s_waitcnt lgkmcnt(0)
	; wave barrier
	s_waitcnt lgkmcnt(0)
                                        ; implicit-def: $vgpr66_vgpr67
                                        ; implicit-def: $vgpr62_vgpr63
	s_and_saveexec_b64 s[4:5], vcc
	s_cbranch_execz .LBB0_21
; %bb.20:
	ds_read_b128 v[0:3], v184
	ds_read_b128 v[20:23], v184 offset:672
	ds_read_b128 v[24:27], v184 offset:1344
	;; [unrolled: 1-line block ×16, first 2 shown]
.LBB0_21:
	s_or_b64 exec, exec, s[4:5]
	s_waitcnt lgkmcnt(0)
	; wave barrier
	s_waitcnt lgkmcnt(0)
	s_and_saveexec_b64 s[4:5], vcc
	s_cbranch_execz .LBB0_23
; %bb.22:
	s_movk_i32 s6, 0xab
	v_mul_lo_u16_sdwa v68, v76, s6 dst_sel:DWORD dst_unused:UNUSED_PAD src0_sel:BYTE_0 src1_sel:DWORD
	v_lshrrev_b16_e32 v77, 9, v68
	v_mul_lo_u16_e32 v68, 3, v77
	v_sub_u16_e32 v185, v76, v68
	v_mov_b32_e32 v68, 8
	v_lshlrev_b32_sdwa v88, v68, v185 dst_sel:DWORD dst_unused:UNUSED_PAD src0_sel:DWORD src1_sel:BYTE_0
	global_load_dwordx4 v[68:71], v88, s[8:9] offset:112
	global_load_dwordx4 v[72:75], v88, s[8:9] offset:128
	global_load_dwordx4 v[84:87], v88, s[8:9] offset:96
	global_load_dwordx4 v[90:93], v88, s[8:9] offset:144
	global_load_dwordx4 v[100:103], v88, s[8:9] offset:80
	global_load_dwordx4 v[104:107], v88, s[8:9] offset:160
	global_load_dwordx4 v[94:97], v88, s[8:9] offset:64
	global_load_dwordx4 v[110:113], v88, s[8:9] offset:176
	global_load_dwordx4 v[118:121], v88, s[8:9] offset:48
	global_load_dwordx4 v[126:129], v88, s[8:9] offset:192
	global_load_dwordx4 v[130:133], v88, s[8:9]
	global_load_dwordx4 v[136:139], v88, s[8:9] offset:32
	global_load_dwordx4 v[140:143], v88, s[8:9] offset:240
	;; [unrolled: 1-line block ×5, first 2 shown]
	s_mov_b32 s6, 0x7faef3
	s_mov_b32 s7, 0xbfef7484
	;; [unrolled: 1-line block ×48, first 2 shown]
	s_waitcnt vmcnt(15)
	v_mul_f64 v[156:157], v[8:9], v[70:71]
	v_mul_f64 v[160:161], v[10:11], v[70:71]
	s_waitcnt vmcnt(13)
	v_mul_f64 v[70:71], v[44:45], v[86:87]
	v_mul_f64 v[86:87], v[46:47], v[86:87]
	s_waitcnt vmcnt(12)
	v_mul_f64 v[88:89], v[36:37], v[92:93]
	s_waitcnt vmcnt(10)
	v_mul_f64 v[98:99], v[40:41], v[106:107]
	v_mul_f64 v[164:165], v[42:43], v[106:107]
	s_waitcnt vmcnt(8)
	v_mul_f64 v[124:125], v[50:51], v[112:113]
	v_mul_f64 v[122:123], v[48:49], v[112:113]
	s_waitcnt vmcnt(6)
	v_mul_f64 v[170:171], v[52:53], v[128:129]
	;; [unrolled: 8-line block ×3, first 2 shown]
	s_waitcnt vmcnt(0)
	v_mul_f64 v[182:183], v[60:61], v[154:155]
	v_fma_f64 v[108:109], v[46:47], v[84:85], v[70:71]
	v_fma_f64 v[70:71], v[48:49], v[110:111], -v[124:125]
	v_fma_f64 v[176:177], v[22:23], v[130:131], v[166:167]
	v_mul_f64 v[134:135], v[28:29], v[120:121]
	v_fma_f64 v[48:49], v[66:67], v[140:141], v[174:175]
	v_mul_f64 v[128:129], v[54:55], v[128:129]
	v_mul_f64 v[172:173], v[12:13], v[138:139]
	v_mul_f64 v[178:179], v[56:57], v[146:147]
	v_mul_f64 v[150:151], v[26:27], v[150:151]
	v_mul_f64 v[154:155], v[62:63], v[154:155]
	v_fma_f64 v[106:107], v[44:45], v[84:85], -v[86:87]
	v_fma_f64 v[84:85], v[50:51], v[110:111], v[122:123]
	v_fma_f64 v[166:167], v[20:21], v[130:131], -v[132:133]
	v_fma_f64 v[50:51], v[64:65], v[140:141], -v[142:143]
	v_fma_f64 v[64:65], v[54:55], v[126:127], v[170:171]
	v_fma_f64 v[132:133], v[26:27], v[148:149], v[180:181]
	v_fma_f64 v[54:55], v[62:63], v[152:153], v[182:183]
	v_add_f64 v[182:183], v[176:177], v[48:49]
	v_mul_f64 v[158:159], v[38:39], v[92:93]
	v_mul_f64 v[92:93], v[16:17], v[102:103]
	;; [unrolled: 1-line block ×6, first 2 shown]
	v_fma_f64 v[124:125], v[30:31], v[118:119], v[134:135]
	v_fma_f64 v[62:63], v[52:53], v[126:127], -v[128:129]
	v_fma_f64 v[128:129], v[14:15], v[136:137], v[172:173]
	v_fma_f64 v[134:135], v[24:25], v[148:149], -v[150:151]
	v_fma_f64 v[52:53], v[60:61], v[152:153], -v[154:155]
	v_fma_f64 v[58:59], v[58:59], v[144:145], v[178:179]
	v_add_f64 v[126:127], v[166:167], -v[50:51]
	v_add_f64 v[174:175], v[132:133], v[54:55]
	v_mul_f64 v[14:15], v[182:183], s[6:7]
	v_mul_f64 v[162:163], v[18:19], v[102:103]
	;; [unrolled: 1-line block ×3, first 2 shown]
	v_fma_f64 v[112:113], v[18:19], v[100:101], v[92:93]
	v_fma_f64 v[116:117], v[34:35], v[94:95], v[114:115]
	v_fma_f64 v[114:115], v[32:33], v[94:95], -v[96:97]
	v_fma_f64 v[130:131], v[12:13], v[136:137], -v[138:139]
	;; [unrolled: 1-line block ×3, first 2 shown]
	v_add_f64 v[178:179], v[176:177], -v[48:49]
	v_add_f64 v[96:97], v[134:135], -v[52:53]
	v_add_f64 v[142:143], v[128:129], v[58:59]
	v_mul_f64 v[12:13], v[174:175], s[12:13]
	v_fma_f64 v[18:19], v[126:127], s[10:11], v[14:15]
	v_fma_f64 v[122:123], v[28:29], v[118:119], -v[120:121]
	v_add_f64 v[120:121], v[166:167], v[50:51]
	v_add_f64 v[150:151], v[132:133], -v[54:55]
	v_add_f64 v[92:93], v[130:131], -v[56:57]
	v_add_f64 v[138:139], v[124:125], v[64:65]
	v_mul_f64 v[20:21], v[178:179], s[20:21]
	v_mul_f64 v[22:23], v[142:143], s[16:17]
	v_fma_f64 v[24:25], v[96:97], s[14:15], v[12:13]
	v_add_f64 v[18:19], v[2:3], v[18:19]
	v_fma_f64 v[102:103], v[38:39], v[90:91], v[88:89]
	v_fma_f64 v[86:87], v[42:43], v[104:105], v[98:99]
	v_add_f64 v[94:95], v[134:135], v[52:53]
	v_add_f64 v[148:149], v[128:129], -v[58:59]
	v_add_f64 v[88:89], v[122:123], -v[62:63]
	v_add_f64 v[136:137], v[116:117], v[84:85]
	v_mul_f64 v[26:27], v[150:151], s[30:31]
	v_mul_f64 v[28:29], v[138:139], s[34:35]
	v_fma_f64 v[30:31], v[120:121], s[6:7], v[20:21]
	v_fma_f64 v[32:33], v[92:93], s[18:19], v[22:23]
	v_add_f64 v[18:19], v[24:25], v[18:19]
	v_add_f64 v[98:99], v[130:131], v[56:57]
	v_add_f64 v[60:61], v[114:115], -v[70:71]
	v_mul_f64 v[24:25], v[148:149], s[28:29]
	v_mul_f64 v[34:35], v[136:137], s[22:23]
	v_fma_f64 v[38:39], v[94:95], s[12:13], v[26:27]
	v_fma_f64 v[42:43], v[88:89], s[40:41], v[28:29]
	v_add_f64 v[30:31], v[0:1], v[30:31]
	v_add_f64 v[18:19], v[32:33], v[18:19]
	v_fma_f64 v[140:141], v[16:17], v[100:101], -v[162:163]
	v_fma_f64 v[110:111], v[40:41], v[104:105], -v[164:165]
	v_add_f64 v[146:147], v[112:113], v[86:87]
	v_add_f64 v[152:153], v[124:125], -v[64:65]
	v_mul_f64 v[168:169], v[4:5], v[74:75]
	v_fma_f64 v[16:17], v[98:99], s[16:17], v[24:25]
	v_fma_f64 v[32:33], v[60:61], s[26:27], v[34:35]
	v_add_f64 v[30:31], v[38:39], v[30:31]
	v_add_f64 v[18:19], v[42:43], v[18:19]
	v_fma_f64 v[118:119], v[36:37], v[90:91], -v[158:159]
	v_add_f64 v[66:67], v[140:141], -v[110:111]
	v_mul_f64 v[36:37], v[146:147], s[24:25]
	v_add_f64 v[144:145], v[108:109], v[102:103]
	v_add_f64 v[100:101], v[122:123], v[62:63]
	v_mul_f64 v[38:39], v[152:153], s[36:37]
	v_add_f64 v[158:159], v[116:117], -v[84:85]
	v_add_f64 v[16:17], v[16:17], v[30:31]
	v_add_f64 v[18:19], v[32:33], v[18:19]
	v_add_f64 v[90:91], v[106:107], -v[118:119]
	v_fma_f64 v[30:31], v[66:67], s[38:39], v[36:37]
	v_mul_f64 v[32:33], v[144:145], s[42:43]
	v_add_f64 v[104:105], v[114:115], v[70:71]
	v_fma_f64 v[40:41], v[100:101], s[34:35], v[38:39]
	v_mul_f64 v[42:43], v[158:159], s[52:53]
	v_mul_f64 v[44:45], v[6:7], v[74:75]
	v_add_f64 v[162:163], v[112:113], -v[86:87]
	v_fma_f64 v[164:165], v[10:11], v[68:69], v[156:157]
	v_fma_f64 v[156:157], v[6:7], v[72:73], v[168:169]
	v_add_f64 v[18:19], v[30:31], v[18:19]
	v_fma_f64 v[30:31], v[90:91], s[44:45], v[32:33]
	v_add_f64 v[16:17], v[40:41], v[16:17]
	;; [unrolled: 2-line block ×3, first 2 shown]
	v_mul_f64 v[46:47], v[162:163], s[48:49]
	v_fma_f64 v[160:161], v[8:9], v[68:69], -v[160:161]
	v_fma_f64 v[154:155], v[4:5], v[72:73], -v[44:45]
	v_add_f64 v[170:171], v[108:109], -v[102:103]
	v_add_f64 v[172:173], v[164:165], v[156:157]
	v_fma_f64 v[10:11], v[126:127], s[20:21], v[14:15]
	v_add_f64 v[4:5], v[30:31], v[18:19]
	v_add_f64 v[6:7], v[40:41], v[16:17]
	v_fma_f64 v[8:9], v[74:75], s[24:25], v[46:47]
	v_add_f64 v[68:69], v[106:107], v[118:119]
	v_fma_f64 v[16:17], v[120:121], s[6:7], -v[20:21]
	v_mul_f64 v[14:15], v[170:171], s[46:47]
	v_mul_f64 v[18:19], v[172:173], s[50:51]
	v_add_f64 v[72:73], v[160:161], -v[154:155]
	v_fma_f64 v[12:13], v[96:97], s[30:31], v[12:13]
	v_add_f64 v[10:11], v[2:3], v[10:11]
	v_add_f64 v[6:7], v[8:9], v[6:7]
	v_fma_f64 v[20:21], v[94:95], s[12:13], -v[26:27]
	v_add_f64 v[16:17], v[0:1], v[16:17]
	v_fma_f64 v[8:9], v[68:69], s[42:43], v[14:15]
	v_add_f64 v[180:181], v[164:165], -v[156:157]
	v_fma_f64 v[26:27], v[72:73], s[56:57], v[18:19]
	v_mul_f64 v[30:31], v[142:143], s[50:51]
	v_add_f64 v[10:11], v[12:13], v[10:11]
	v_fma_f64 v[12:13], v[92:93], s[28:29], v[22:23]
	v_mul_f64 v[22:23], v[182:183], s[16:17]
	v_add_f64 v[16:17], v[20:21], v[16:17]
	v_fma_f64 v[20:21], v[98:99], s[16:17], -v[24:25]
	v_add_f64 v[8:9], v[8:9], v[6:7]
	v_add_f64 v[6:7], v[26:27], v[4:5]
	v_mul_f64 v[24:25], v[174:175], s[24:25]
	v_add_f64 v[168:169], v[160:161], v[154:155]
	v_add_f64 v[4:5], v[12:13], v[10:11]
	v_fma_f64 v[10:11], v[88:89], s[36:37], v[28:29]
	v_mul_f64 v[26:27], v[180:181], s[54:55]
	v_add_f64 v[12:13], v[20:21], v[16:17]
	v_fma_f64 v[16:17], v[100:101], s[34:35], -v[38:39]
	v_fma_f64 v[20:21], v[126:127], s[18:19], v[22:23]
	v_fma_f64 v[28:29], v[96:97], s[38:39], v[24:25]
	v_mul_f64 v[38:39], v[138:139], s[22:23]
	v_mul_f64 v[40:41], v[150:151], s[48:49]
	v_add_f64 v[4:5], v[10:11], v[4:5]
	v_fma_f64 v[10:11], v[60:61], s[52:53], v[34:35]
	v_mul_f64 v[34:35], v[178:179], s[28:29]
	v_add_f64 v[12:13], v[16:17], v[12:13]
	v_fma_f64 v[16:17], v[104:105], s[22:23], -v[42:43]
	v_add_f64 v[20:21], v[2:3], v[20:21]
	v_fma_f64 v[32:33], v[90:91], s[46:47], v[32:33]
	v_fma_f64 v[14:15], v[68:69], s[42:43], -v[14:15]
	v_fma_f64 v[44:45], v[94:95], s[24:25], v[40:41]
	v_add_f64 v[4:5], v[10:11], v[4:5]
	v_fma_f64 v[10:11], v[66:67], s[48:49], v[36:37]
	v_fma_f64 v[36:37], v[168:169], s[50:51], v[26:27]
	v_add_f64 v[12:13], v[16:17], v[12:13]
	v_fma_f64 v[16:17], v[74:75], s[24:25], -v[46:47]
	v_add_f64 v[20:21], v[28:29], v[20:21]
	v_fma_f64 v[28:29], v[92:93], s[54:55], v[30:31]
	v_mul_f64 v[46:47], v[148:149], s[56:57]
	v_fma_f64 v[24:25], v[96:97], s[48:49], v[24:25]
	v_add_f64 v[10:11], v[10:11], v[4:5]
	v_fma_f64 v[4:5], v[120:121], s[16:17], v[34:35]
	v_fma_f64 v[40:41], v[94:95], s[24:25], -v[40:41]
	v_add_f64 v[12:13], v[16:17], v[12:13]
	v_fma_f64 v[26:27], v[168:169], s[50:51], -v[26:27]
	v_add_f64 v[16:17], v[28:29], v[20:21]
	v_fma_f64 v[20:21], v[88:89], s[52:53], v[38:39]
	v_mul_f64 v[28:29], v[136:137], s[12:13]
	v_mul_f64 v[186:187], v[148:149], s[14:15]
	v_add_f64 v[42:43], v[0:1], v[4:5]
	v_add_f64 v[4:5], v[36:37], v[8:9]
	;; [unrolled: 1-line block ×4, first 2 shown]
	v_fma_f64 v[10:11], v[72:73], s[54:55], v[18:19]
	v_add_f64 v[14:15], v[20:21], v[16:17]
	v_fma_f64 v[16:17], v[60:61], s[30:31], v[28:29]
	v_fma_f64 v[20:21], v[98:99], s[50:51], v[46:47]
	v_add_f64 v[18:19], v[44:45], v[42:43]
	v_mul_f64 v[32:33], v[152:153], s[26:27]
	v_mul_f64 v[36:37], v[146:147], s[6:7]
	;; [unrolled: 1-line block ×3, first 2 shown]
	v_add_f64 v[10:11], v[10:11], v[8:9]
	v_fma_f64 v[8:9], v[126:127], s[28:29], v[22:23]
	v_add_f64 v[14:15], v[16:17], v[14:15]
	v_fma_f64 v[16:17], v[120:121], s[16:17], -v[34:35]
	v_add_f64 v[18:19], v[20:21], v[18:19]
	v_fma_f64 v[20:21], v[100:101], s[22:23], v[32:33]
	v_mul_f64 v[22:23], v[158:159], s[14:15]
	v_fma_f64 v[34:35], v[66:67], s[10:11], v[36:37]
	v_mul_f64 v[44:45], v[162:163], s[20:21]
	v_add_f64 v[8:9], v[2:3], v[8:9]
	v_fma_f64 v[28:29], v[60:61], s[14:15], v[28:29]
	v_add_f64 v[16:17], v[0:1], v[16:17]
	v_mul_f64 v[190:191], v[146:147], s[34:35]
	v_add_f64 v[18:19], v[20:21], v[18:19]
	v_fma_f64 v[20:21], v[104:105], s[12:13], v[22:23]
	v_add_f64 v[14:15], v[34:35], v[14:15]
	v_fma_f64 v[34:35], v[90:91], s[40:41], v[42:43]
	;; [unrolled: 2-line block ×3, first 2 shown]
	v_add_f64 v[16:17], v[40:41], v[16:17]
	v_fma_f64 v[30:31], v[98:99], s[50:51], -v[46:47]
	v_mul_f64 v[40:41], v[170:171], s[36:37]
	v_add_f64 v[18:19], v[20:21], v[18:19]
	v_fma_f64 v[20:21], v[74:75], s[6:7], v[44:45]
	v_mul_f64 v[46:47], v[172:173], s[42:43]
	v_add_f64 v[14:15], v[34:35], v[14:15]
	v_add_f64 v[8:9], v[24:25], v[8:9]
	v_fma_f64 v[24:25], v[88:89], s[26:27], v[38:39]
	v_add_f64 v[16:17], v[30:31], v[16:17]
	v_fma_f64 v[30:31], v[100:101], s[22:23], -v[32:33]
	v_mul_f64 v[34:35], v[182:183], s[22:23]
	v_add_f64 v[18:19], v[20:21], v[18:19]
	v_fma_f64 v[20:21], v[68:69], s[34:35], v[40:41]
	v_fma_f64 v[32:33], v[72:73], s[44:45], v[46:47]
	v_fma_f64 v[22:23], v[104:105], s[12:13], -v[22:23]
	v_add_f64 v[24:25], v[24:25], v[8:9]
	v_add_f64 v[8:9], v[26:27], v[12:13]
	;; [unrolled: 1-line block ×3, first 2 shown]
	v_fma_f64 v[26:27], v[66:67], s[20:21], v[36:37]
	v_mul_f64 v[36:37], v[142:143], s[12:13]
	v_add_f64 v[12:13], v[20:21], v[18:19]
	v_fma_f64 v[18:19], v[126:127], s[26:27], v[34:35]
	v_mul_f64 v[20:21], v[174:175], s[42:43]
	v_add_f64 v[14:15], v[32:33], v[14:15]
	v_add_f64 v[24:25], v[28:29], v[24:25]
	;; [unrolled: 1-line block ×3, first 2 shown]
	v_fma_f64 v[22:23], v[74:75], s[6:7], -v[44:45]
	v_mul_f64 v[28:29], v[178:179], s[52:53]
	v_mul_f64 v[30:31], v[180:181], s[46:47]
	v_add_f64 v[18:19], v[2:3], v[18:19]
	v_fma_f64 v[32:33], v[96:97], s[46:47], v[20:21]
	v_mul_f64 v[38:39], v[150:151], s[44:45]
	v_add_f64 v[24:25], v[26:27], v[24:25]
	v_fma_f64 v[26:27], v[90:91], s[36:37], v[42:43]
	v_add_f64 v[16:17], v[22:23], v[16:17]
	v_fma_f64 v[22:23], v[120:121], s[22:23], v[28:29]
	v_fma_f64 v[40:41], v[68:69], s[34:35], -v[40:41]
	v_mul_f64 v[42:43], v[138:139], s[16:17]
	v_add_f64 v[18:19], v[32:33], v[18:19]
	v_fma_f64 v[32:33], v[92:93], s[30:31], v[36:37]
	v_fma_f64 v[44:45], v[168:169], s[42:43], v[30:31]
	v_add_f64 v[24:25], v[26:27], v[24:25]
	v_fma_f64 v[26:27], v[94:95], s[42:43], v[38:39]
	v_add_f64 v[22:23], v[0:1], v[22:23]
	v_add_f64 v[16:17], v[40:41], v[16:17]
	v_mul_f64 v[40:41], v[136:137], s[50:51]
	v_fma_f64 v[46:47], v[72:73], s[46:47], v[46:47]
	v_add_f64 v[18:19], v[32:33], v[18:19]
	v_fma_f64 v[32:33], v[88:89], s[18:19], v[42:43]
	v_fma_f64 v[30:31], v[168:169], s[42:43], -v[30:31]
	v_add_f64 v[12:13], v[44:45], v[12:13]
	v_add_f64 v[22:23], v[26:27], v[22:23]
	v_fma_f64 v[26:27], v[98:99], s[12:13], v[186:187]
	v_mul_f64 v[44:45], v[152:153], s[28:29]
	v_fma_f64 v[188:189], v[60:61], s[56:57], v[40:41]
	v_fma_f64 v[28:29], v[120:121], s[22:23], -v[28:29]
	v_add_f64 v[32:33], v[32:33], v[18:19]
	v_add_f64 v[18:19], v[46:47], v[24:25]
	;; [unrolled: 1-line block ×3, first 2 shown]
	v_fma_f64 v[24:25], v[126:127], s[52:53], v[34:35]
	v_add_f64 v[22:23], v[26:27], v[22:23]
	v_fma_f64 v[26:27], v[100:101], s[16:17], v[44:45]
	v_mul_f64 v[30:31], v[158:159], s[54:55]
	v_fma_f64 v[34:35], v[66:67], s[36:37], v[190:191]
	v_add_f64 v[32:33], v[188:189], v[32:33]
	v_mul_f64 v[46:47], v[144:145], s[6:7]
	v_fma_f64 v[20:21], v[96:97], s[44:45], v[20:21]
	v_add_f64 v[24:25], v[2:3], v[24:25]
	v_mul_f64 v[188:189], v[162:163], s[40:41]
	v_add_f64 v[22:23], v[26:27], v[22:23]
	v_fma_f64 v[26:27], v[104:105], s[50:51], v[30:31]
	v_fma_f64 v[38:39], v[94:95], s[42:43], -v[38:39]
	v_add_f64 v[32:33], v[34:35], v[32:33]
	v_fma_f64 v[34:35], v[90:91], s[10:11], v[46:47]
	v_add_f64 v[28:29], v[0:1], v[28:29]
	v_add_f64 v[20:21], v[20:21], v[24:25]
	v_fma_f64 v[24:25], v[92:93], s[14:15], v[36:37]
	v_mul_f64 v[36:37], v[170:171], s[20:21]
	v_add_f64 v[22:23], v[26:27], v[22:23]
	v_fma_f64 v[26:27], v[74:75], s[34:35], v[188:189]
	v_mul_f64 v[192:193], v[172:173], s[24:25]
	v_add_f64 v[32:33], v[34:35], v[32:33]
	v_add_f64 v[28:29], v[38:39], v[28:29]
	v_fma_f64 v[34:35], v[98:99], s[12:13], -v[186:187]
	v_add_f64 v[20:21], v[24:25], v[20:21]
	v_fma_f64 v[24:25], v[88:89], s[28:29], v[42:43]
	v_mul_f64 v[42:43], v[182:183], s[42:43]
	v_add_f64 v[22:23], v[26:27], v[22:23]
	v_fma_f64 v[26:27], v[68:69], s[6:7], v[36:37]
	v_fma_f64 v[38:39], v[72:73], s[38:39], v[192:193]
	v_mul_f64 v[186:187], v[180:181], s[48:49]
	v_add_f64 v[28:29], v[34:35], v[28:29]
	v_fma_f64 v[34:35], v[100:101], s[16:17], -v[44:45]
	v_add_f64 v[20:21], v[24:25], v[20:21]
	v_fma_f64 v[24:25], v[60:61], s[54:55], v[40:41]
	v_fma_f64 v[30:31], v[104:105], s[50:51], -v[30:31]
	v_add_f64 v[26:27], v[26:27], v[22:23]
	v_add_f64 v[22:23], v[38:39], v[32:33]
	v_fma_f64 v[32:33], v[126:127], s[44:45], v[42:43]
	v_mul_f64 v[38:39], v[174:175], s[16:17]
	v_fma_f64 v[40:41], v[168:169], s[24:25], v[186:187]
	v_add_f64 v[28:29], v[34:35], v[28:29]
	v_mul_f64 v[34:35], v[178:179], s[46:47]
	v_add_f64 v[24:25], v[24:25], v[20:21]
	v_fma_f64 v[44:45], v[66:67], s[40:41], v[190:191]
	v_mul_f64 v[194:195], v[142:143], s[34:35]
	v_add_f64 v[32:33], v[2:3], v[32:33]
	v_fma_f64 v[190:191], v[96:97], s[28:29], v[38:39]
	v_add_f64 v[20:21], v[40:41], v[26:27]
	v_add_f64 v[26:27], v[30:31], v[28:29]
	v_fma_f64 v[28:29], v[74:75], s[34:35], -v[188:189]
	v_fma_f64 v[30:31], v[120:121], s[42:43], v[34:35]
	v_mul_f64 v[40:41], v[150:151], s[18:19]
	v_add_f64 v[24:25], v[44:45], v[24:25]
	v_fma_f64 v[46:47], v[90:91], s[20:21], v[46:47]
	v_add_f64 v[32:33], v[190:191], v[32:33]
	v_mul_f64 v[190:191], v[148:149], s[36:37]
	v_fma_f64 v[44:45], v[92:93], s[40:41], v[194:195]
	v_add_f64 v[26:27], v[28:29], v[26:27]
	v_add_f64 v[28:29], v[0:1], v[30:31]
	v_fma_f64 v[30:31], v[94:95], s[16:17], v[40:41]
	v_mul_f64 v[188:189], v[138:139], s[24:25]
	v_fma_f64 v[36:37], v[68:69], s[6:7], -v[36:37]
	v_add_f64 v[24:25], v[46:47], v[24:25]
	v_fma_f64 v[46:47], v[72:73], s[48:49], v[192:193]
	v_add_f64 v[32:33], v[44:45], v[32:33]
	v_mul_f64 v[196:197], v[136:137], s[6:7]
	v_mul_f64 v[192:193], v[152:153], s[38:39]
	v_add_f64 v[28:29], v[30:31], v[28:29]
	v_fma_f64 v[30:31], v[98:99], s[34:35], v[190:191]
	v_fma_f64 v[44:45], v[88:89], s[48:49], v[188:189]
	v_add_f64 v[36:37], v[36:37], v[26:27]
	v_add_f64 v[26:27], v[46:47], v[24:25]
	v_mul_f64 v[198:199], v[146:147], s[50:51]
	v_fma_f64 v[38:39], v[96:97], s[18:19], v[38:39]
	v_fma_f64 v[34:35], v[120:121], s[42:43], -v[34:35]
	v_mul_f64 v[46:47], v[144:145], s[12:13]
	v_add_f64 v[24:25], v[30:31], v[28:29]
	v_fma_f64 v[28:29], v[126:127], s[46:47], v[42:43]
	v_add_f64 v[32:33], v[44:45], v[32:33]
	v_fma_f64 v[44:45], v[60:61], s[10:11], v[196:197]
	v_fma_f64 v[30:31], v[100:101], s[24:25], v[192:193]
	v_mul_f64 v[42:43], v[158:159], s[20:21]
	v_mul_f64 v[200:201], v[162:163], s[54:55]
	v_fma_f64 v[40:41], v[94:95], s[16:17], -v[40:41]
	v_add_f64 v[34:35], v[0:1], v[34:35]
	v_add_f64 v[28:29], v[2:3], v[28:29]
	v_fma_f64 v[186:187], v[168:169], s[24:25], -v[186:187]
	v_add_f64 v[32:33], v[44:45], v[32:33]
	v_fma_f64 v[44:45], v[66:67], s[56:57], v[198:199]
	v_add_f64 v[24:25], v[30:31], v[24:25]
	v_fma_f64 v[30:31], v[104:105], s[6:7], v[42:43]
	v_mul_f64 v[202:203], v[172:173], s[22:23]
	v_add_f64 v[34:35], v[40:41], v[34:35]
	v_add_f64 v[28:29], v[38:39], v[28:29]
	v_fma_f64 v[38:39], v[92:93], s[36:37], v[194:195]
	v_mul_f64 v[194:195], v[170:171], s[14:15]
	v_add_f64 v[32:33], v[44:45], v[32:33]
	v_fma_f64 v[44:45], v[90:91], s[30:31], v[46:47]
	v_add_f64 v[24:25], v[30:31], v[24:25]
	v_fma_f64 v[30:31], v[74:75], s[50:51], v[200:201]
	v_fma_f64 v[40:41], v[98:99], s[34:35], -v[190:191]
	v_mul_f64 v[190:191], v[182:183], s[50:51]
	v_add_f64 v[28:29], v[38:39], v[28:29]
	v_fma_f64 v[38:39], v[88:89], s[38:39], v[188:189]
	v_fma_f64 v[188:189], v[72:73], s[26:27], v[202:203]
	v_add_f64 v[32:33], v[44:45], v[32:33]
	v_fma_f64 v[44:45], v[68:69], s[12:13], v[194:195]
	v_add_f64 v[30:31], v[30:31], v[24:25]
	v_add_f64 v[24:25], v[186:187], v[36:37]
	;; [unrolled: 1-line block ×3, first 2 shown]
	v_fma_f64 v[36:37], v[100:101], s[24:25], -v[192:193]
	v_add_f64 v[28:29], v[38:39], v[28:29]
	v_fma_f64 v[38:39], v[60:61], s[20:21], v[196:197]
	v_mul_f64 v[186:187], v[180:181], s[52:53]
	v_mul_f64 v[192:193], v[142:143], s[42:43]
	v_add_f64 v[40:41], v[44:45], v[30:31]
	v_add_f64 v[30:31], v[188:189], v[32:33]
	v_fma_f64 v[32:33], v[126:127], s[54:55], v[190:191]
	v_mul_f64 v[44:45], v[174:175], s[6:7]
	v_add_f64 v[34:35], v[36:37], v[34:35]
	v_fma_f64 v[36:37], v[104:105], s[6:7], -v[42:43]
	v_add_f64 v[28:29], v[38:39], v[28:29]
	v_mul_f64 v[38:39], v[178:179], s[56:57]
	v_fma_f64 v[42:43], v[66:67], s[54:55], v[198:199]
	v_fma_f64 v[196:197], v[168:169], s[22:23], v[186:187]
	v_add_f64 v[32:33], v[2:3], v[32:33]
	v_fma_f64 v[188:189], v[96:97], s[10:11], v[44:45]
	v_fma_f64 v[46:47], v[90:91], s[14:15], v[46:47]
	v_add_f64 v[34:35], v[36:37], v[34:35]
	v_fma_f64 v[36:37], v[74:75], s[50:51], -v[200:201]
	v_fma_f64 v[198:199], v[120:121], s[50:51], v[38:39]
	v_mul_f64 v[200:201], v[150:151], s[20:21]
	v_add_f64 v[42:43], v[42:43], v[28:29]
	v_mul_f64 v[204:205], v[148:149], s[44:45]
	v_add_f64 v[28:29], v[188:189], v[32:33]
	v_fma_f64 v[32:33], v[92:93], s[46:47], v[192:193]
	v_mul_f64 v[188:189], v[138:139], s[12:13]
	v_add_f64 v[34:35], v[36:37], v[34:35]
	v_add_f64 v[36:37], v[0:1], v[198:199]
	v_fma_f64 v[198:199], v[94:95], s[6:7], v[200:201]
	v_fma_f64 v[194:195], v[68:69], s[12:13], -v[194:195]
	v_mul_f64 v[208:209], v[136:137], s[24:25]
	v_fma_f64 v[190:191], v[126:127], s[56:57], v[190:191]
	v_add_f64 v[32:33], v[32:33], v[28:29]
	v_fma_f64 v[206:207], v[88:89], s[14:15], v[188:189]
	v_add_f64 v[28:29], v[196:197], v[40:41]
	v_add_f64 v[40:41], v[46:47], v[42:43]
	;; [unrolled: 1-line block ×3, first 2 shown]
	v_fma_f64 v[42:43], v[98:99], s[42:43], v[204:205]
	v_mul_f64 v[46:47], v[152:153], s[30:31]
	v_add_f64 v[194:195], v[194:195], v[34:35]
	v_fma_f64 v[34:35], v[60:61], s[48:49], v[208:209]
	v_add_f64 v[32:33], v[206:207], v[32:33]
	v_fma_f64 v[198:199], v[72:73], s[52:53], v[202:203]
	v_mul_f64 v[202:203], v[158:159], s[38:39]
	v_mul_f64 v[196:197], v[146:147], s[16:17]
	v_add_f64 v[36:37], v[42:43], v[36:37]
	v_fma_f64 v[42:43], v[100:101], s[12:13], v[46:47]
	v_fma_f64 v[186:187], v[168:169], s[22:23], -v[186:187]
	v_fma_f64 v[44:45], v[96:97], s[20:21], v[44:45]
	v_add_f64 v[206:207], v[34:35], v[32:33]
	v_add_f64 v[190:191], v[2:3], v[190:191]
	;; [unrolled: 1-line block ×3, first 2 shown]
	v_fma_f64 v[40:41], v[104:105], s[24:25], v[202:203]
	v_fma_f64 v[210:211], v[66:67], s[18:19], v[196:197]
	v_add_f64 v[36:37], v[42:43], v[36:37]
	v_mul_f64 v[42:43], v[162:163], s[28:29]
	v_add_f64 v[32:33], v[186:187], v[194:195]
	v_mul_f64 v[186:187], v[144:145], s[22:23]
	v_add_f64 v[44:45], v[44:45], v[190:191]
	v_fma_f64 v[38:39], v[120:121], s[50:51], -v[38:39]
	v_fma_f64 v[190:191], v[92:93], s[44:45], v[192:193]
	v_mul_f64 v[192:193], v[170:171], s[26:27]
	v_add_f64 v[36:37], v[40:41], v[36:37]
	v_fma_f64 v[40:41], v[74:75], s[16:17], v[42:43]
	v_add_f64 v[194:195], v[210:211], v[206:207]
	v_fma_f64 v[198:199], v[90:91], s[52:53], v[186:187]
	v_mul_f64 v[206:207], v[172:173], s[34:35]
	v_fma_f64 v[200:201], v[94:95], s[6:7], -v[200:201]
	v_add_f64 v[38:39], v[0:1], v[38:39]
	v_add_f64 v[44:45], v[190:191], v[44:45]
	v_fma_f64 v[188:189], v[88:89], s[30:31], v[188:189]
	v_add_f64 v[36:37], v[40:41], v[36:37]
	v_fma_f64 v[40:41], v[68:69], s[22:23], v[192:193]
	;; [unrolled: 2-line block ×3, first 2 shown]
	v_mul_f64 v[198:199], v[180:181], s[36:37]
	v_add_f64 v[200:201], v[200:201], v[38:39]
	v_fma_f64 v[204:205], v[98:99], s[42:43], -v[204:205]
	v_add_f64 v[44:45], v[188:189], v[44:45]
	v_fma_f64 v[188:189], v[60:61], s[38:39], v[208:209]
	v_add_f64 v[36:37], v[40:41], v[36:37]
	v_mul_f64 v[40:41], v[182:183], s[24:25]
	v_add_f64 v[38:39], v[194:195], v[190:191]
	v_fma_f64 v[190:191], v[168:169], s[34:35], v[198:199]
	v_mul_f64 v[194:195], v[178:179], s[38:39]
	v_add_f64 v[200:201], v[204:205], v[200:201]
	v_fma_f64 v[46:47], v[100:101], s[12:13], -v[46:47]
	v_add_f64 v[44:45], v[188:189], v[44:45]
	v_fma_f64 v[188:189], v[66:67], s[28:29], v[196:197]
	v_fma_f64 v[196:197], v[126:127], s[48:49], v[40:41]
	v_mul_f64 v[204:205], v[174:175], s[22:23]
	v_add_f64 v[36:37], v[190:191], v[36:37]
	v_fma_f64 v[190:191], v[120:121], s[24:25], v[194:195]
	v_mul_f64 v[208:209], v[150:151], s[52:53]
	v_add_f64 v[46:47], v[46:47], v[200:201]
	v_fma_f64 v[200:201], v[104:105], s[24:25], -v[202:203]
	v_add_f64 v[44:45], v[188:189], v[44:45]
	v_add_f64 v[188:189], v[2:3], v[196:197]
	v_fma_f64 v[196:197], v[96:97], s[26:27], v[204:205]
	v_mul_f64 v[202:203], v[142:143], s[6:7]
	v_add_f64 v[190:191], v[0:1], v[190:191]
	v_fma_f64 v[210:211], v[94:95], s[22:23], v[208:209]
	v_mul_f64 v[212:213], v[148:149], s[10:11]
	v_add_f64 v[46:47], v[200:201], v[46:47]
	v_fma_f64 v[42:43], v[74:75], s[16:17], -v[42:43]
	v_fma_f64 v[186:187], v[90:91], s[26:27], v[186:187]
	v_add_f64 v[188:189], v[196:197], v[188:189]
	v_fma_f64 v[196:197], v[92:93], s[20:21], v[202:203]
	v_mul_f64 v[200:201], v[138:139], s[42:43]
	v_add_f64 v[190:191], v[210:211], v[190:191]
	v_fma_f64 v[210:211], v[98:99], s[6:7], v[212:213]
	v_mul_f64 v[214:215], v[152:153], s[44:45]
	v_add_f64 v[42:43], v[42:43], v[46:47]
	v_fma_f64 v[46:47], v[68:69], s[22:23], -v[192:193]
	v_add_f64 v[44:45], v[186:187], v[44:45]
	v_add_f64 v[186:187], v[196:197], v[188:189]
	v_fma_f64 v[188:189], v[88:89], s[46:47], v[200:201]
	v_mul_f64 v[192:193], v[136:137], s[34:35]
	v_add_f64 v[190:191], v[210:211], v[190:191]
	v_fma_f64 v[196:197], v[100:101], s[42:43], v[214:215]
	v_mul_f64 v[210:211], v[158:159], s[36:37]
	v_add_f64 v[46:47], v[46:47], v[42:43]
	v_fma_f64 v[42:43], v[72:73], s[36:37], v[206:207]
	v_fma_f64 v[40:41], v[126:127], s[38:39], v[40:41]
	v_add_f64 v[186:187], v[188:189], v[186:187]
	v_fma_f64 v[188:189], v[60:61], s[40:41], v[192:193]
	v_mul_f64 v[206:207], v[146:147], s[12:13]
	v_add_f64 v[190:191], v[196:197], v[190:191]
	v_fma_f64 v[196:197], v[104:105], s[34:35], v[210:211]
	v_mul_f64 v[216:217], v[162:163], s[14:15]
	v_fma_f64 v[204:205], v[96:97], s[52:53], v[204:205]
	v_add_f64 v[40:41], v[2:3], v[40:41]
	v_mul_f64 v[218:219], v[144:145], s[50:51]
	v_add_f64 v[186:187], v[188:189], v[186:187]
	v_fma_f64 v[188:189], v[66:67], s[30:31], v[206:207]
	v_fma_f64 v[198:199], v[168:169], s[34:35], -v[198:199]
	v_add_f64 v[190:191], v[196:197], v[190:191]
	v_fma_f64 v[196:197], v[74:75], s[12:13], v[216:217]
	v_mul_f64 v[220:221], v[170:171], s[56:57]
	v_add_f64 v[40:41], v[204:205], v[40:41]
	v_fma_f64 v[202:203], v[92:93], s[10:11], v[202:203]
	v_add_f64 v[42:43], v[42:43], v[44:45]
	v_add_f64 v[44:45], v[188:189], v[186:187]
	v_fma_f64 v[186:187], v[90:91], s[54:55], v[218:219]
	v_fma_f64 v[188:189], v[120:121], s[24:25], -v[194:195]
	v_mul_f64 v[194:195], v[172:173], s[16:17]
	v_add_f64 v[190:191], v[196:197], v[190:191]
	v_fma_f64 v[196:197], v[68:69], s[50:51], v[220:221]
	v_add_f64 v[202:203], v[202:203], v[40:41]
	v_fma_f64 v[200:201], v[88:89], s[44:45], v[200:201]
	v_add_f64 v[40:41], v[198:199], v[46:47]
	v_fma_f64 v[46:47], v[94:95], s[22:23], -v[208:209]
	v_add_f64 v[188:189], v[0:1], v[188:189]
	v_add_f64 v[44:45], v[186:187], v[44:45]
	v_fma_f64 v[186:187], v[72:73], s[18:19], v[194:195]
	v_mul_f64 v[198:199], v[182:183], s[34:35]
	v_add_f64 v[190:191], v[196:197], v[190:191]
	v_add_f64 v[196:197], v[200:201], v[202:203]
	v_fma_f64 v[192:193], v[60:61], s[36:37], v[192:193]
	v_mul_f64 v[200:201], v[178:179], s[40:41]
	v_add_f64 v[188:189], v[46:47], v[188:189]
	v_fma_f64 v[202:203], v[98:99], s[6:7], -v[212:213]
	v_add_f64 v[46:47], v[186:187], v[44:45]
	v_fma_f64 v[44:45], v[126:127], s[40:41], v[198:199]
	v_mul_f64 v[204:205], v[174:175], s[50:51]
	v_mul_f64 v[208:209], v[150:151], s[56:57]
	v_add_f64 v[192:193], v[192:193], v[196:197]
	v_fma_f64 v[196:197], v[120:121], s[34:35], -v[200:201]
	v_fma_f64 v[206:207], v[66:67], s[14:15], v[206:207]
	v_add_f64 v[188:189], v[202:203], v[188:189]
	v_fma_f64 v[202:203], v[100:101], s[42:43], -v[214:215]
	v_add_f64 v[44:45], v[2:3], v[44:45]
	v_fma_f64 v[212:213], v[96:97], s[56:57], v[204:205]
	v_mul_f64 v[214:215], v[142:143], s[22:23]
	v_fma_f64 v[222:223], v[94:95], s[50:51], -v[208:209]
	v_add_f64 v[196:197], v[0:1], v[196:197]
	v_mul_f64 v[224:225], v[148:149], s[52:53]
	v_add_f64 v[192:193], v[206:207], v[192:193]
	v_add_f64 v[188:189], v[202:203], v[188:189]
	v_fma_f64 v[202:203], v[104:105], s[34:35], -v[210:211]
	v_add_f64 v[44:45], v[212:213], v[44:45]
	v_fma_f64 v[210:211], v[92:93], s[52:53], v[214:215]
	v_mul_f64 v[212:213], v[138:139], s[6:7]
	v_add_f64 v[196:197], v[222:223], v[196:197]
	v_fma_f64 v[206:207], v[98:99], s[22:23], -v[224:225]
	v_mul_f64 v[222:223], v[152:153], s[20:21]
	v_mul_f64 v[186:187], v[180:181], s[28:29]
	v_add_f64 v[188:189], v[202:203], v[188:189]
	v_fma_f64 v[202:203], v[74:75], s[12:13], -v[216:217]
	v_add_f64 v[44:45], v[210:211], v[44:45]
	v_fma_f64 v[210:211], v[88:89], s[20:21], v[212:213]
	v_mul_f64 v[216:217], v[136:137], s[16:17]
	v_fma_f64 v[218:219], v[90:91], s[56:57], v[218:219]
	v_add_f64 v[196:197], v[206:207], v[196:197]
	v_fma_f64 v[206:207], v[100:101], s[6:7], -v[222:223]
	v_mul_f64 v[226:227], v[158:159], s[18:19]
	v_add_f64 v[188:189], v[202:203], v[188:189]
	v_fma_f64 v[202:203], v[68:69], s[50:51], -v[220:221]
	v_add_f64 v[44:45], v[210:211], v[44:45]
	v_fma_f64 v[210:211], v[60:61], s[18:19], v[216:217]
	v_mul_f64 v[220:221], v[146:147], s[42:43]
	v_add_f64 v[176:177], v[2:3], v[176:177]
	v_fma_f64 v[228:229], v[168:169], s[16:17], v[186:187]
	v_add_f64 v[196:197], v[206:207], v[196:197]
	v_fma_f64 v[206:207], v[104:105], s[16:17], -v[226:227]
	v_mul_f64 v[230:231], v[162:163], s[44:45]
	v_add_f64 v[192:193], v[218:219], v[192:193]
	v_add_f64 v[202:203], v[202:203], v[188:189]
	;; [unrolled: 1-line block ×3, first 2 shown]
	v_fma_f64 v[210:211], v[66:67], s[44:45], v[220:221]
	v_mul_f64 v[218:219], v[144:145], s[24:25]
	v_fma_f64 v[194:195], v[72:73], s[28:29], v[194:195]
	v_add_f64 v[166:167], v[0:1], v[166:167]
	v_add_f64 v[132:133], v[176:177], v[132:133]
	;; [unrolled: 1-line block ×3, first 2 shown]
	v_fma_f64 v[206:207], v[74:75], s[42:43], -v[230:231]
	v_mul_f64 v[232:233], v[170:171], s[48:49]
	v_fma_f64 v[186:187], v[168:169], s[16:17], -v[186:187]
	v_add_f64 v[44:45], v[228:229], v[190:191]
	v_add_f64 v[190:191], v[210:211], v[188:189]
	v_fma_f64 v[210:211], v[90:91], s[48:49], v[218:219]
	v_add_f64 v[188:189], v[194:195], v[192:193]
	v_mul_f64 v[192:193], v[172:173], s[12:13]
	v_add_f64 v[134:135], v[166:167], v[134:135]
	v_add_f64 v[128:129], v[132:133], v[128:129]
	;; [unrolled: 1-line block ×3, first 2 shown]
	v_fma_f64 v[196:197], v[68:69], s[24:25], -v[232:233]
	v_add_f64 v[186:187], v[186:187], v[202:203]
	v_mul_f64 v[202:203], v[180:181], s[30:31]
	v_mul_f64 v[182:183], v[182:183], s[12:13]
	v_add_f64 v[190:191], v[210:211], v[190:191]
	v_fma_f64 v[206:207], v[72:73], s[30:31], v[192:193]
	v_mul_f64 v[178:179], v[178:179], s[14:15]
	v_add_f64 v[130:131], v[134:135], v[130:131]
	v_add_f64 v[124:125], v[128:129], v[124:125]
	;; [unrolled: 1-line block ×3, first 2 shown]
	v_fma_f64 v[196:197], v[168:169], s[12:13], -v[202:203]
	v_fma_f64 v[210:211], v[126:127], s[14:15], v[182:183]
	v_mul_f64 v[228:229], v[174:175], s[34:35]
	v_add_f64 v[176:177], v[206:207], v[190:191]
	v_fma_f64 v[190:191], v[120:121], s[12:13], -v[178:179]
	v_mul_f64 v[150:151], v[150:151], s[40:41]
	v_add_f64 v[122:123], v[130:131], v[122:123]
	v_add_f64 v[116:117], v[124:125], v[116:117]
	;; [unrolled: 1-line block ×4, first 2 shown]
	v_fma_f64 v[194:195], v[96:97], s[40:41], v[228:229]
	v_mul_f64 v[132:133], v[142:143], s[24:25]
	v_add_f64 v[142:143], v[0:1], v[190:191]
	v_fma_f64 v[190:191], v[94:95], s[34:35], -v[150:151]
	v_mul_f64 v[134:135], v[148:149], s[38:39]
	v_add_f64 v[114:115], v[122:123], v[114:115]
	v_add_f64 v[112:113], v[116:117], v[112:113]
	v_mul_f64 v[138:139], v[138:139], s[50:51]
	v_add_f64 v[166:167], v[194:195], v[166:167]
	v_fma_f64 v[128:129], v[92:93], s[38:39], v[132:133]
	v_mul_f64 v[152:153], v[152:153], s[56:57]
	v_add_f64 v[142:143], v[190:191], v[142:143]
	v_fma_f64 v[130:131], v[98:99], s[24:25], -v[134:135]
	v_add_f64 v[114:115], v[114:115], v[140:141]
	v_add_f64 v[108:109], v[112:113], v[108:109]
	v_mul_f64 v[136:137], v[136:137], s[42:43]
	v_fma_f64 v[148:149], v[126:127], s[36:37], v[198:199]
	v_add_f64 v[124:125], v[128:129], v[166:167]
	v_fma_f64 v[128:129], v[88:89], s[56:57], v[138:139]
	v_mul_f64 v[140:141], v[146:147], s[22:23]
	v_add_f64 v[122:123], v[130:131], v[142:143]
	v_fma_f64 v[130:131], v[100:101], s[50:51], -v[152:153]
	v_mul_f64 v[142:143], v[158:159], s[46:47]
	v_add_f64 v[106:107], v[114:115], v[106:107]
	v_add_f64 v[108:109], v[108:109], v[164:165]
	v_mul_f64 v[112:113], v[162:163], s[52:53]
	v_add_f64 v[124:125], v[128:129], v[124:125]
	v_fma_f64 v[128:129], v[60:61], s[46:47], v[136:137]
	v_fma_f64 v[114:115], v[66:67], s[52:53], v[140:141]
	v_add_f64 v[122:123], v[130:131], v[122:123]
	v_fma_f64 v[130:131], v[104:105], s[42:43], -v[142:143]
	v_add_f64 v[106:107], v[106:107], v[160:161]
	v_add_f64 v[108:109], v[108:109], v[156:157]
	;; [unrolled: 1-line block ×3, first 2 shown]
	v_fma_f64 v[126:127], v[126:127], s[30:31], v[182:183]
	v_add_f64 v[124:125], v[128:129], v[124:125]
	v_mul_f64 v[128:129], v[144:145], s[16:17]
	v_mul_f64 v[144:145], v[170:171], s[28:29]
	v_add_f64 v[122:123], v[130:131], v[122:123]
	v_fma_f64 v[130:131], v[74:75], s[22:23], -v[112:113]
	v_add_f64 v[106:107], v[106:107], v[154:155]
	v_add_f64 v[102:103], v[108:109], v[102:103]
	v_fma_f64 v[108:109], v[96:97], s[54:55], v[204:205]
	v_fma_f64 v[116:117], v[120:121], s[34:35], v[200:201]
	;; [unrolled: 1-line block ×3, first 2 shown]
	v_add_f64 v[114:115], v[114:115], v[124:125]
	v_fma_f64 v[124:125], v[90:91], s[28:29], v[128:129]
	v_add_f64 v[122:123], v[130:131], v[122:123]
	v_fma_f64 v[130:131], v[68:69], s[16:17], -v[144:145]
	v_mul_f64 v[154:155], v[180:181], s[20:21]
	v_add_f64 v[106:107], v[106:107], v[118:119]
	v_add_f64 v[86:87], v[102:103], v[86:87]
	;; [unrolled: 1-line block ×3, first 2 shown]
	v_fma_f64 v[108:109], v[92:93], s[26:27], v[214:215]
	v_add_f64 v[116:117], v[0:1], v[116:117]
	v_add_f64 v[126:127], v[2:3], v[126:127]
	;; [unrolled: 1-line block ×4, first 2 shown]
	v_fma_f64 v[118:119], v[168:169], s[6:7], -v[154:155]
	v_add_f64 v[120:121], v[0:1], v[120:121]
	v_fma_f64 v[124:125], v[94:95], s[50:51], v[208:209]
	v_add_f64 v[106:107], v[106:107], v[110:111]
	v_fma_f64 v[96:97], v[96:97], s[36:37], v[228:229]
	v_add_f64 v[84:85], v[86:87], v[84:85]
	v_add_f64 v[86:87], v[108:109], v[102:103]
	v_fma_f64 v[102:103], v[88:89], s[10:11], v[212:213]
	v_fma_f64 v[94:95], v[94:95], s[34:35], v[150:151]
	v_add_f64 v[0:1], v[118:119], v[114:115]
	v_add_f64 v[110:111], v[124:125], v[116:117]
	v_fma_f64 v[114:115], v[98:99], s[22:23], v[224:225]
	v_add_f64 v[70:71], v[106:107], v[70:71]
	v_fma_f64 v[92:93], v[92:93], s[48:49], v[132:133]
	v_add_f64 v[96:97], v[96:97], v[126:127]
	v_add_f64 v[64:65], v[84:85], v[64:65]
	v_add_f64 v[84:85], v[102:103], v[86:87]
	v_fma_f64 v[86:87], v[98:99], s[24:25], v[134:135]
	v_add_f64 v[94:95], v[94:95], v[120:121]
	v_add_f64 v[106:107], v[114:115], v[110:111]
	v_fma_f64 v[108:109], v[100:101], s[6:7], v[222:223]
	v_fma_f64 v[98:99], v[60:61], s[28:29], v[216:217]
	;; [unrolled: 1-line block ×3, first 2 shown]
	v_add_f64 v[92:93], v[92:93], v[96:97]
	v_add_f64 v[62:63], v[70:71], v[62:63]
	v_fma_f64 v[70:71], v[100:101], s[50:51], v[152:153]
	v_add_f64 v[86:87], v[86:87], v[94:95]
	v_fma_f64 v[102:103], v[104:105], s[16:17], v[226:227]
	v_add_f64 v[96:97], v[108:109], v[106:107]
	v_add_f64 v[84:85], v[98:99], v[84:85]
	v_fma_f64 v[60:61], v[60:61], s[44:45], v[136:137]
	v_add_f64 v[88:89], v[88:89], v[92:93]
	v_fma_f64 v[98:99], v[104:105], s[42:43], v[142:143]
	v_fma_f64 v[94:95], v[66:67], s[46:47], v[220:221]
	v_add_f64 v[70:71], v[70:71], v[86:87]
	v_add_f64 v[58:59], v[64:65], v[58:59]
	;; [unrolled: 1-line block ×3, first 2 shown]
	v_fma_f64 v[96:97], v[74:75], s[42:43], v[230:231]
	v_add_f64 v[56:57], v[62:63], v[56:57]
	v_fma_f64 v[64:65], v[66:67], s[26:27], v[140:141]
	v_add_f64 v[60:61], v[60:61], v[88:89]
	v_fma_f64 v[74:75], v[74:75], s[22:23], v[112:113]
	v_add_f64 v[70:71], v[98:99], v[70:71]
	v_mul_f64 v[148:149], v[172:173], s[6:7]
	v_add_f64 v[62:63], v[94:95], v[84:85]
	v_add_f64 v[66:67], v[96:97], v[92:93]
	v_fma_f64 v[84:85], v[90:91], s[38:39], v[218:219]
	v_fma_f64 v[86:87], v[68:69], s[24:25], v[232:233]
	v_add_f64 v[54:55], v[58:59], v[54:55]
	v_fma_f64 v[58:59], v[90:91], s[18:19], v[128:129]
	v_add_f64 v[60:61], v[64:65], v[60:61]
	v_add_f64 v[56:57], v[56:57], v[52:53]
	v_fma_f64 v[52:53], v[68:69], s[16:17], v[144:145]
	v_add_f64 v[64:65], v[74:75], v[70:71]
	v_fma_f64 v[122:123], v[72:73], s[20:21], v[148:149]
	v_add_f64 v[62:63], v[84:85], v[62:63]
	v_add_f64 v[66:67], v[86:87], v[66:67]
	v_fma_f64 v[68:69], v[72:73], s[14:15], v[192:193]
	v_fma_f64 v[70:71], v[72:73], s[10:11], v[148:149]
	v_add_f64 v[58:59], v[58:59], v[60:61]
	v_fma_f64 v[60:61], v[168:169], s[12:13], v[202:203]
	v_fma_f64 v[72:73], v[168:169], s[6:7], v[154:155]
	v_add_f64 v[64:65], v[52:53], v[64:65]
	v_add_f64 v[52:53], v[54:55], v[48:49]
	;; [unrolled: 1-line block ×4, first 2 shown]
	v_mov_b32_e32 v48, 4
	v_lshlrev_b32_sdwa v48, v48, v185 dst_sel:DWORD dst_unused:UNUSED_PAD src0_sel:DWORD src1_sel:BYTE_0
	v_mul_u32_u24_e32 v49, 0x330, v77
	v_add3_u32 v48, 0, v49, v48
	v_add_f64 v[56:57], v[68:69], v[62:63]
	v_add_f64 v[54:55], v[60:61], v[66:67]
	;; [unrolled: 1-line block ×4, first 2 shown]
	ds_write_b128 v48, v[50:53]
	ds_write_b128 v48, v[0:3] offset:48
	ds_write_b128 v48, v[174:177] offset:96
	ds_write_b128 v48, v[186:189] offset:144
	ds_write_b128 v48, v[40:43] offset:192
	ds_write_b128 v48, v[32:35] offset:240
	ds_write_b128 v48, v[24:27] offset:288
	ds_write_b128 v48, v[16:19] offset:336
	ds_write_b128 v48, v[8:11] offset:384
	ds_write_b128 v48, v[4:7] offset:432
	ds_write_b128 v48, v[12:15] offset:480
	ds_write_b128 v48, v[20:23] offset:528
	ds_write_b128 v48, v[28:31] offset:576
	ds_write_b128 v48, v[36:39] offset:624
	ds_write_b128 v48, v[44:47] offset:672
	ds_write_b128 v48, v[54:57] offset:720
	ds_write_b128 v48, v[58:61] offset:768
.LBB0_23:
	s_or_b64 exec, exec, s[4:5]
	v_mul_u32_u24_e32 v0, 6, v76
	v_lshlrev_b32_e32 v24, 4, v0
	s_waitcnt lgkmcnt(0)
	; wave barrier
	s_waitcnt lgkmcnt(0)
	global_load_dwordx4 v[0:3], v24, s[8:9] offset:768
	global_load_dwordx4 v[4:7], v24, s[8:9] offset:784
	;; [unrolled: 1-line block ×6, first 2 shown]
	ds_read_b128 v[24:27], v184
	ds_read_b128 v[28:31], v184 offset:816
	ds_read_b128 v[32:35], v184 offset:1632
	;; [unrolled: 1-line block ×13, first 2 shown]
	s_mov_b32 s6, 0x37e14327
	s_mov_b32 s10, 0x429ad128
	;; [unrolled: 1-line block ×20, first 2 shown]
	s_waitcnt lgkmcnt(0)
	; wave barrier
	s_waitcnt vmcnt(5) lgkmcnt(0)
	v_mul_f64 v[88:89], v[34:35], v[2:3]
	v_mul_f64 v[90:91], v[32:33], v[2:3]
	s_waitcnt vmcnt(4)
	v_mul_f64 v[92:93], v[42:43], v[6:7]
	v_mul_f64 v[94:95], v[40:41], v[6:7]
	s_waitcnt vmcnt(1)
	;; [unrolled: 3-line block ×3, first 2 shown]
	v_mul_f64 v[108:109], v[74:75], v[22:23]
	v_mul_f64 v[110:111], v[72:73], v[22:23]
	;; [unrolled: 1-line block ×10, first 2 shown]
	v_fma_f64 v[32:33], v[32:33], v[0:1], -v[88:89]
	v_fma_f64 v[34:35], v[34:35], v[0:1], v[90:91]
	v_fma_f64 v[40:41], v[40:41], v[4:5], -v[92:93]
	v_fma_f64 v[42:43], v[42:43], v[4:5], v[94:95]
	;; [unrolled: 2-line block ×4, first 2 shown]
	v_mul_f64 v[114:115], v[46:47], v[6:7]
	v_mul_f64 v[6:7], v[44:45], v[6:7]
	;; [unrolled: 1-line block ×6, first 2 shown]
	v_fma_f64 v[48:49], v[48:49], v[8:9], -v[96:97]
	v_fma_f64 v[50:51], v[50:51], v[8:9], v[98:99]
	v_fma_f64 v[56:57], v[56:57], v[12:13], -v[100:101]
	v_fma_f64 v[58:59], v[58:59], v[12:13], v[102:103]
	;; [unrolled: 2-line block ×4, first 2 shown]
	v_add_f64 v[0:1], v[32:33], v[72:73]
	v_add_f64 v[2:3], v[34:35], v[74:75]
	;; [unrolled: 1-line block ×4, first 2 shown]
	v_fma_f64 v[44:45], v[44:45], v[4:5], -v[114:115]
	v_fma_f64 v[46:47], v[46:47], v[4:5], v[6:7]
	v_fma_f64 v[60:61], v[60:61], v[12:13], -v[118:119]
	v_fma_f64 v[62:63], v[62:63], v[12:13], v[14:15]
	;; [unrolled: 2-line block ×3, first 2 shown]
	v_add_f64 v[4:5], v[32:33], -v[72:73]
	v_add_f64 v[6:7], v[34:35], -v[74:75]
	;; [unrolled: 1-line block ×4, first 2 shown]
	v_add_f64 v[16:17], v[48:49], v[56:57]
	v_add_f64 v[18:19], v[50:51], v[58:59]
	v_add_f64 v[32:33], v[56:57], -v[48:49]
	v_add_f64 v[34:35], v[58:59], -v[50:51]
	v_add_f64 v[40:41], v[8:9], v[0:1]
	v_add_f64 v[42:43], v[10:11], v[2:3]
	v_add_f64 v[48:49], v[8:9], -v[0:1]
	v_add_f64 v[50:51], v[10:11], -v[2:3]
	;; [unrolled: 1-line block ×6, first 2 shown]
	v_add_f64 v[56:57], v[32:33], v[12:13]
	v_add_f64 v[58:59], v[34:35], v[14:15]
	v_add_f64 v[64:65], v[32:33], -v[12:13]
	v_add_f64 v[66:67], v[34:35], -v[14:15]
	;; [unrolled: 1-line block ×4, first 2 shown]
	v_add_f64 v[16:17], v[16:17], v[40:41]
	v_add_f64 v[18:19], v[18:19], v[42:43]
	v_add_f64 v[32:33], v[4:5], -v[32:33]
	v_add_f64 v[34:35], v[6:7], -v[34:35]
	v_mul_f64 v[40:41], v[0:1], s[6:7]
	v_mul_f64 v[42:43], v[2:3], s[6:7]
	;; [unrolled: 1-line block ×4, first 2 shown]
	v_add_f64 v[0:1], v[24:25], v[16:17]
	v_add_f64 v[2:3], v[26:27], v[18:19]
	v_mul_f64 v[24:25], v[12:13], s[10:11]
	v_mul_f64 v[26:27], v[14:15], s[10:11]
	v_add_f64 v[4:5], v[56:57], v[4:5]
	v_add_f64 v[6:7], v[58:59], v[6:7]
	v_mul_f64 v[56:57], v[8:9], s[4:5]
	v_mul_f64 v[58:59], v[10:11], s[4:5]
	;; [unrolled: 1-line block ×4, first 2 shown]
	v_fma_f64 v[8:9], v[8:9], s[4:5], v[40:41]
	v_fma_f64 v[10:11], v[10:11], s[4:5], v[42:43]
	;; [unrolled: 1-line block ×4, first 2 shown]
	v_fma_f64 v[40:41], v[48:49], s[18:19], -v[40:41]
	v_fma_f64 v[42:43], v[50:51], s[18:19], -v[42:43]
	;; [unrolled: 1-line block ×6, first 2 shown]
	v_fma_f64 v[48:49], v[32:33], s[20:21], v[64:65]
	v_fma_f64 v[50:51], v[34:35], s[20:21], v[66:67]
	v_fma_f64 v[12:13], v[12:13], s[10:11], -v[64:65]
	v_fma_f64 v[14:15], v[14:15], s[10:11], -v[66:67]
	v_add_f64 v[40:41], v[40:41], v[16:17]
	v_add_f64 v[42:43], v[42:43], v[18:19]
	v_fma_f64 v[26:27], v[6:7], s[22:23], v[26:27]
	v_fma_f64 v[24:25], v[4:5], s[22:23], v[24:25]
	v_fma_f64 v[64:65], v[84:85], v[20:21], -v[122:123]
	v_fma_f64 v[66:67], v[86:87], v[20:21], v[22:23]
	v_add_f64 v[32:33], v[8:9], v[16:17]
	v_add_f64 v[34:35], v[10:11], v[18:19]
	;; [unrolled: 1-line block ×4, first 2 shown]
	v_fma_f64 v[16:17], v[6:7], s[22:23], v[14:15]
	v_fma_f64 v[18:19], v[4:5], s[22:23], v[12:13]
	v_add_f64 v[8:9], v[26:27], v[40:41]
	v_add_f64 v[10:11], v[42:43], -v[24:25]
	v_add_f64 v[20:21], v[40:41], -v[26:27]
	v_add_f64 v[22:23], v[24:25], v[42:43]
	v_add_f64 v[24:25], v[36:37], v[64:65]
	;; [unrolled: 1-line block ×5, first 2 shown]
	v_add_f64 v[12:13], v[56:57], -v[16:17]
	v_add_f64 v[14:15], v[18:19], v[58:59]
	v_add_f64 v[16:17], v[16:17], v[56:57]
	v_add_f64 v[18:19], v[58:59], -v[18:19]
	v_add_f64 v[36:37], v[36:37], -v[64:65]
	;; [unrolled: 1-line block ×5, first 2 shown]
	v_add_f64 v[56:57], v[52:53], v[60:61]
	v_add_f64 v[58:59], v[54:55], v[62:63]
	v_add_f64 v[52:53], v[60:61], -v[52:53]
	v_add_f64 v[54:55], v[62:63], -v[54:55]
	v_add_f64 v[60:61], v[40:41], v[24:25]
	v_add_f64 v[62:63], v[42:43], v[26:27]
	v_add_f64 v[64:65], v[40:41], -v[24:25]
	v_add_f64 v[66:67], v[42:43], -v[26:27]
	;; [unrolled: 1-line block ×6, first 2 shown]
	v_add_f64 v[24:25], v[52:53], v[44:45]
	v_add_f64 v[26:27], v[54:55], v[46:47]
	v_add_f64 v[72:73], v[52:53], -v[44:45]
	v_add_f64 v[74:75], v[54:55], -v[46:47]
	v_add_f64 v[56:57], v[56:57], v[60:61]
	v_add_f64 v[58:59], v[58:59], v[62:63]
	v_add_f64 v[44:45], v[44:45], -v[36:37]
	v_add_f64 v[46:47], v[46:47], -v[38:39]
	;; [unrolled: 1-line block ×4, first 2 shown]
	v_add_f64 v[36:37], v[24:25], v[36:37]
	v_add_f64 v[38:39], v[26:27], v[38:39]
	;; [unrolled: 1-line block ×4, first 2 shown]
	v_mul_f64 v[28:29], v[68:69], s[6:7]
	v_mul_f64 v[30:31], v[70:71], s[6:7]
	;; [unrolled: 1-line block ×8, first 2 shown]
	v_fma_f64 v[56:57], v[56:57], s[14:15], v[24:25]
	v_fma_f64 v[58:59], v[58:59], s[14:15], v[26:27]
	;; [unrolled: 1-line block ×4, first 2 shown]
	v_fma_f64 v[60:61], v[64:65], s[16:17], -v[60:61]
	v_fma_f64 v[62:63], v[66:67], s[16:17], -v[62:63]
	;; [unrolled: 1-line block ×4, first 2 shown]
	v_fma_f64 v[64:65], v[52:53], s[20:21], v[68:69]
	v_fma_f64 v[66:67], v[54:55], s[20:21], v[70:71]
	v_fma_f64 v[44:45], v[44:45], s[10:11], -v[68:69]
	v_fma_f64 v[46:47], v[46:47], s[10:11], -v[70:71]
	;; [unrolled: 1-line block ×4, first 2 shown]
	v_fma_f64 v[50:51], v[6:7], s[22:23], v[50:51]
	v_fma_f64 v[48:49], v[4:5], s[22:23], v[48:49]
	v_add_f64 v[68:69], v[40:41], v[56:57]
	v_add_f64 v[70:71], v[42:43], v[58:59]
	;; [unrolled: 1-line block ×6, first 2 shown]
	v_fma_f64 v[66:67], v[38:39], s[22:23], v[66:67]
	v_fma_f64 v[64:65], v[36:37], s[22:23], v[64:65]
	;; [unrolled: 1-line block ×6, first 2 shown]
	v_add_f64 v[4:5], v[50:51], v[32:33]
	v_add_f64 v[6:7], v[34:35], -v[48:49]
	v_add_f64 v[28:29], v[32:33], -v[50:51]
	v_add_f64 v[30:31], v[48:49], v[34:35]
	v_add_f64 v[32:33], v[66:67], v[68:69]
	v_add_f64 v[34:35], v[70:71], -v[64:65]
	v_add_f64 v[36:37], v[54:55], v[56:57]
	v_add_f64 v[38:39], v[58:59], -v[52:53]
	v_add_f64 v[40:41], v[60:61], -v[46:47]
	v_add_f64 v[42:43], v[72:73], v[62:63]
	v_add_f64 v[44:45], v[46:47], v[60:61]
	v_add_f64 v[46:47], v[62:63], -v[72:73]
	v_add_f64 v[48:49], v[56:57], -v[54:55]
	v_add_f64 v[50:51], v[52:53], v[58:59]
	v_add_f64 v[52:53], v[68:69], -v[66:67]
	v_add_f64 v[54:55], v[64:65], v[70:71]
	ds_write_b128 v184, v[0:3]
	ds_write_b128 v184, v[4:7] offset:816
	ds_write_b128 v184, v[8:11] offset:1632
	;; [unrolled: 1-line block ×13, first 2 shown]
	v_mov_b32_e32 v4, s9
	v_add_co_u32_e32 v0, vcc, s8, v80
	v_addc_co_u32_e32 v1, vcc, v4, v81, vcc
	s_movk_i32 s4, 0x1000
	v_add_co_u32_e32 v0, vcc, s4, v0
	v_addc_co_u32_e32 v1, vcc, 0, v1, vcc
	v_add_co_u32_e32 v18, vcc, s8, v82
	v_addc_co_u32_e32 v19, vcc, v4, v83, vcc
	s_waitcnt lgkmcnt(0)
	; wave barrier
	s_waitcnt lgkmcnt(0)
	global_load_dwordx4 v[0:3], v[0:1], off offset:1568
	v_add_co_u32_e32 v16, vcc, s4, v18
	v_addc_co_u32_e32 v17, vcc, 0, v19, vcc
	global_load_dwordx4 v[4:7], v[16:17], off offset:2384
	global_load_dwordx4 v[8:11], v[16:17], off offset:3200
	;; [unrolled: 1-line block ×3, first 2 shown]
	s_movk_i32 s4, 0x2000
	v_add_co_u32_e32 v28, vcc, s4, v18
	v_addc_co_u32_e32 v29, vcc, 0, v19, vcc
	global_load_dwordx4 v[16:19], v[28:29], off offset:736
	global_load_dwordx4 v[20:23], v[28:29], off offset:1552
	;; [unrolled: 1-line block ×3, first 2 shown]
	ds_read_b128 v[28:31], v184 offset:5712
	ds_read_b128 v[32:35], v184
	ds_read_b128 v[36:39], v184 offset:816
	ds_read_b128 v[40:43], v184 offset:6528
	;; [unrolled: 1-line block ×12, first 2 shown]
	s_waitcnt lgkmcnt(0)
	; wave barrier
	s_waitcnt vmcnt(6) lgkmcnt(0)
	v_mul_f64 v[88:89], v[30:31], v[2:3]
	v_mul_f64 v[2:3], v[28:29], v[2:3]
	s_waitcnt vmcnt(5)
	v_mul_f64 v[90:91], v[42:43], v[6:7]
	v_mul_f64 v[6:7], v[40:41], v[6:7]
	v_fma_f64 v[28:29], v[28:29], v[0:1], -v[88:89]
	v_fma_f64 v[2:3], v[30:31], v[0:1], v[2:3]
	s_waitcnt vmcnt(4)
	v_mul_f64 v[0:1], v[46:47], v[10:11]
	v_fma_f64 v[30:31], v[40:41], v[4:5], -v[90:91]
	v_fma_f64 v[6:7], v[42:43], v[4:5], v[6:7]
	v_mul_f64 v[4:5], v[44:45], v[10:11]
	s_waitcnt vmcnt(3)
	v_mul_f64 v[10:11], v[58:59], v[14:15]
	v_mul_f64 v[14:15], v[56:57], v[14:15]
	s_waitcnt vmcnt(2)
	v_mul_f64 v[40:41], v[62:63], v[18:19]
	;; [unrolled: 3-line block ×3, first 2 shown]
	v_mul_f64 v[22:23], v[80:81], v[22:23]
	v_fma_f64 v[44:45], v[44:45], v[8:9], -v[0:1]
	v_fma_f64 v[46:47], v[46:47], v[8:9], v[4:5]
	v_fma_f64 v[56:57], v[56:57], v[12:13], -v[10:11]
	v_fma_f64 v[58:59], v[58:59], v[12:13], v[14:15]
	s_waitcnt vmcnt(0)
	v_mul_f64 v[12:13], v[86:87], v[26:27]
	v_mul_f64 v[14:15], v[84:85], v[26:27]
	v_fma_f64 v[40:41], v[60:61], v[16:17], -v[40:41]
	v_fma_f64 v[60:61], v[62:63], v[16:17], v[18:19]
	v_fma_f64 v[42:43], v[80:81], v[20:21], -v[42:43]
	v_fma_f64 v[62:63], v[82:83], v[20:21], v[22:23]
	v_add_f64 v[0:1], v[32:33], -v[28:29]
	v_add_f64 v[2:3], v[34:35], -v[2:3]
	;; [unrolled: 1-line block ×6, first 2 shown]
	v_fma_f64 v[44:45], v[84:85], v[24:25], -v[12:13]
	v_fma_f64 v[46:47], v[86:87], v[24:25], v[14:15]
	v_add_f64 v[24:25], v[52:53], -v[56:57]
	v_add_f64 v[26:27], v[54:55], -v[58:59]
	v_fma_f64 v[12:13], v[32:33], 2.0, -v[0:1]
	v_fma_f64 v[14:15], v[34:35], 2.0, -v[2:3]
	;; [unrolled: 1-line block ×4, first 2 shown]
	v_add_f64 v[28:29], v[68:69], -v[40:41]
	v_add_f64 v[30:31], v[70:71], -v[60:61]
	;; [unrolled: 1-line block ×6, first 2 shown]
	v_fma_f64 v[20:21], v[48:49], 2.0, -v[8:9]
	v_fma_f64 v[22:23], v[50:51], 2.0, -v[10:11]
	;; [unrolled: 1-line block ×10, first 2 shown]
	ds_write_b128 v184, v[12:15]
	ds_write_b128 v184, v[0:3] offset:5712
	ds_write_b128 v184, v[16:19] offset:816
	;; [unrolled: 1-line block ×13, first 2 shown]
	s_waitcnt lgkmcnt(0)
	; wave barrier
	s_waitcnt lgkmcnt(0)
	s_and_saveexec_b64 s[4:5], s[0:1]
	s_cbranch_execz .LBB0_25
; %bb.24:
	v_lshl_add_u32 v10, v76, 4, 0
	v_mov_b32_e32 v77, 0
	ds_read_b128 v[0:3], v10
	v_mov_b32_e32 v4, s3
	v_add_co_u32_e32 v11, vcc, s2, v78
	v_addc_co_u32_e32 v12, vcc, v4, v79, vcc
	v_lshlrev_b64 v[4:5], 4, v[76:77]
	v_add_co_u32_e32 v8, vcc, v11, v4
	v_addc_co_u32_e32 v9, vcc, v12, v5, vcc
	ds_read_b128 v[4:7], v10 offset:816
	s_waitcnt lgkmcnt(1)
	global_store_dwordx4 v[8:9], v[0:3], off
	s_nop 0
	v_add_u32_e32 v0, 51, v76
	v_mov_b32_e32 v1, v77
	v_lshlrev_b64 v[0:1], 4, v[0:1]
	v_add_co_u32_e32 v0, vcc, v11, v0
	v_addc_co_u32_e32 v1, vcc, v12, v1, vcc
	s_waitcnt lgkmcnt(0)
	global_store_dwordx4 v[0:1], v[4:7], off
	ds_read_b128 v[0:3], v10 offset:1632
	v_add_u32_e32 v4, 0x66, v76
	v_mov_b32_e32 v5, v77
	v_lshlrev_b64 v[4:5], 4, v[4:5]
	v_add_co_u32_e32 v8, vcc, v11, v4
	v_addc_co_u32_e32 v9, vcc, v12, v5, vcc
	ds_read_b128 v[4:7], v10 offset:2448
	s_waitcnt lgkmcnt(1)
	global_store_dwordx4 v[8:9], v[0:3], off
	s_nop 0
	v_add_u32_e32 v0, 0x99, v76
	v_mov_b32_e32 v1, v77
	v_lshlrev_b64 v[0:1], 4, v[0:1]
	v_add_co_u32_e32 v0, vcc, v11, v0
	v_addc_co_u32_e32 v1, vcc, v12, v1, vcc
	s_waitcnt lgkmcnt(0)
	global_store_dwordx4 v[0:1], v[4:7], off
	ds_read_b128 v[0:3], v10 offset:3264
	v_add_u32_e32 v4, 0xcc, v76
	v_mov_b32_e32 v5, v77
	;; [unrolled: 17-line block ×6, first 2 shown]
	v_lshlrev_b64 v[4:5], 4, v[4:5]
	v_add_u32_e32 v76, 0x297, v76
	v_add_co_u32_e32 v8, vcc, v11, v4
	v_addc_co_u32_e32 v9, vcc, v12, v5, vcc
	ds_read_b128 v[4:7], v10 offset:10608
	s_waitcnt lgkmcnt(1)
	global_store_dwordx4 v[8:9], v[0:3], off
	s_nop 0
	v_lshlrev_b64 v[0:1], 4, v[76:77]
	v_add_co_u32_e32 v0, vcc, v11, v0
	v_addc_co_u32_e32 v1, vcc, v12, v1, vcc
	s_waitcnt lgkmcnt(0)
	global_store_dwordx4 v[0:1], v[4:7], off
.LBB0_25:
	s_endpgm
	.section	.rodata,"a",@progbits
	.p2align	6, 0x0
	.amdhsa_kernel fft_rtc_fwd_len714_factors_3_17_7_2_wgs_51_tpt_51_halfLds_dp_ip_CI_unitstride_sbrr_C2R_dirReg
		.amdhsa_group_segment_fixed_size 0
		.amdhsa_private_segment_fixed_size 0
		.amdhsa_kernarg_size 88
		.amdhsa_user_sgpr_count 6
		.amdhsa_user_sgpr_private_segment_buffer 1
		.amdhsa_user_sgpr_dispatch_ptr 0
		.amdhsa_user_sgpr_queue_ptr 0
		.amdhsa_user_sgpr_kernarg_segment_ptr 1
		.amdhsa_user_sgpr_dispatch_id 0
		.amdhsa_user_sgpr_flat_scratch_init 0
		.amdhsa_user_sgpr_private_segment_size 0
		.amdhsa_uses_dynamic_stack 0
		.amdhsa_system_sgpr_private_segment_wavefront_offset 0
		.amdhsa_system_sgpr_workgroup_id_x 1
		.amdhsa_system_sgpr_workgroup_id_y 0
		.amdhsa_system_sgpr_workgroup_id_z 0
		.amdhsa_system_sgpr_workgroup_info 0
		.amdhsa_system_vgpr_workitem_id 0
		.amdhsa_next_free_vgpr 234
		.amdhsa_next_free_sgpr 58
		.amdhsa_reserve_vcc 1
		.amdhsa_reserve_flat_scratch 0
		.amdhsa_float_round_mode_32 0
		.amdhsa_float_round_mode_16_64 0
		.amdhsa_float_denorm_mode_32 3
		.amdhsa_float_denorm_mode_16_64 3
		.amdhsa_dx10_clamp 1
		.amdhsa_ieee_mode 1
		.amdhsa_fp16_overflow 0
		.amdhsa_exception_fp_ieee_invalid_op 0
		.amdhsa_exception_fp_denorm_src 0
		.amdhsa_exception_fp_ieee_div_zero 0
		.amdhsa_exception_fp_ieee_overflow 0
		.amdhsa_exception_fp_ieee_underflow 0
		.amdhsa_exception_fp_ieee_inexact 0
		.amdhsa_exception_int_div_zero 0
	.end_amdhsa_kernel
	.text
.Lfunc_end0:
	.size	fft_rtc_fwd_len714_factors_3_17_7_2_wgs_51_tpt_51_halfLds_dp_ip_CI_unitstride_sbrr_C2R_dirReg, .Lfunc_end0-fft_rtc_fwd_len714_factors_3_17_7_2_wgs_51_tpt_51_halfLds_dp_ip_CI_unitstride_sbrr_C2R_dirReg
                                        ; -- End function
	.section	.AMDGPU.csdata,"",@progbits
; Kernel info:
; codeLenInByte = 14360
; NumSgprs: 62
; NumVgprs: 234
; ScratchSize: 0
; MemoryBound: 0
; FloatMode: 240
; IeeeMode: 1
; LDSByteSize: 0 bytes/workgroup (compile time only)
; SGPRBlocks: 7
; VGPRBlocks: 58
; NumSGPRsForWavesPerEU: 62
; NumVGPRsForWavesPerEU: 234
; Occupancy: 1
; WaveLimiterHint : 1
; COMPUTE_PGM_RSRC2:SCRATCH_EN: 0
; COMPUTE_PGM_RSRC2:USER_SGPR: 6
; COMPUTE_PGM_RSRC2:TRAP_HANDLER: 0
; COMPUTE_PGM_RSRC2:TGID_X_EN: 1
; COMPUTE_PGM_RSRC2:TGID_Y_EN: 0
; COMPUTE_PGM_RSRC2:TGID_Z_EN: 0
; COMPUTE_PGM_RSRC2:TIDIG_COMP_CNT: 0
	.type	__hip_cuid_706f80e419e96ad3,@object ; @__hip_cuid_706f80e419e96ad3
	.section	.bss,"aw",@nobits
	.globl	__hip_cuid_706f80e419e96ad3
__hip_cuid_706f80e419e96ad3:
	.byte	0                               ; 0x0
	.size	__hip_cuid_706f80e419e96ad3, 1

	.ident	"AMD clang version 19.0.0git (https://github.com/RadeonOpenCompute/llvm-project roc-6.4.0 25133 c7fe45cf4b819c5991fe208aaa96edf142730f1d)"
	.section	".note.GNU-stack","",@progbits
	.addrsig
	.addrsig_sym __hip_cuid_706f80e419e96ad3
	.amdgpu_metadata
---
amdhsa.kernels:
  - .args:
      - .actual_access:  read_only
        .address_space:  global
        .offset:         0
        .size:           8
        .value_kind:     global_buffer
      - .offset:         8
        .size:           8
        .value_kind:     by_value
      - .actual_access:  read_only
        .address_space:  global
        .offset:         16
        .size:           8
        .value_kind:     global_buffer
      - .actual_access:  read_only
        .address_space:  global
        .offset:         24
        .size:           8
        .value_kind:     global_buffer
      - .offset:         32
        .size:           8
        .value_kind:     by_value
      - .actual_access:  read_only
        .address_space:  global
        .offset:         40
        .size:           8
        .value_kind:     global_buffer
      - .actual_access:  read_only
        .address_space:  global
        .offset:         48
        .size:           8
        .value_kind:     global_buffer
      - .offset:         56
        .size:           4
        .value_kind:     by_value
      - .actual_access:  read_only
        .address_space:  global
        .offset:         64
        .size:           8
        .value_kind:     global_buffer
      - .actual_access:  read_only
        .address_space:  global
        .offset:         72
        .size:           8
        .value_kind:     global_buffer
      - .address_space:  global
        .offset:         80
        .size:           8
        .value_kind:     global_buffer
    .group_segment_fixed_size: 0
    .kernarg_segment_align: 8
    .kernarg_segment_size: 88
    .language:       OpenCL C
    .language_version:
      - 2
      - 0
    .max_flat_workgroup_size: 51
    .name:           fft_rtc_fwd_len714_factors_3_17_7_2_wgs_51_tpt_51_halfLds_dp_ip_CI_unitstride_sbrr_C2R_dirReg
    .private_segment_fixed_size: 0
    .sgpr_count:     62
    .sgpr_spill_count: 0
    .symbol:         fft_rtc_fwd_len714_factors_3_17_7_2_wgs_51_tpt_51_halfLds_dp_ip_CI_unitstride_sbrr_C2R_dirReg.kd
    .uniform_work_group_size: 1
    .uses_dynamic_stack: false
    .vgpr_count:     234
    .vgpr_spill_count: 0
    .wavefront_size: 64
amdhsa.target:   amdgcn-amd-amdhsa--gfx906
amdhsa.version:
  - 1
  - 2
...

	.end_amdgpu_metadata
